;; amdgpu-corpus repo=ROCm/rocFFT kind=compiled arch=gfx1201 opt=O3
	.text
	.amdgcn_target "amdgcn-amd-amdhsa--gfx1201"
	.amdhsa_code_object_version 6
	.protected	fft_rtc_back_len936_factors_2_2_13_2_3_3_wgs_234_tpt_78_halfLds_dp_op_CI_CI_unitstride_sbrr_R2C_dirReg ; -- Begin function fft_rtc_back_len936_factors_2_2_13_2_3_3_wgs_234_tpt_78_halfLds_dp_op_CI_CI_unitstride_sbrr_R2C_dirReg
	.globl	fft_rtc_back_len936_factors_2_2_13_2_3_3_wgs_234_tpt_78_halfLds_dp_op_CI_CI_unitstride_sbrr_R2C_dirReg
	.p2align	8
	.type	fft_rtc_back_len936_factors_2_2_13_2_3_3_wgs_234_tpt_78_halfLds_dp_op_CI_CI_unitstride_sbrr_R2C_dirReg,@function
fft_rtc_back_len936_factors_2_2_13_2_3_3_wgs_234_tpt_78_halfLds_dp_op_CI_CI_unitstride_sbrr_R2C_dirReg: ; @fft_rtc_back_len936_factors_2_2_13_2_3_3_wgs_234_tpt_78_halfLds_dp_op_CI_CI_unitstride_sbrr_R2C_dirReg
; %bb.0:
	s_load_b128 s[8:11], s[0:1], 0x0
	v_mul_u32_u24_e32 v1, 0x349, v0
	s_clause 0x1
	s_load_b128 s[4:7], s[0:1], 0x58
	s_load_b128 s[12:15], s[0:1], 0x18
	v_mov_b32_e32 v5, 0
	v_lshrrev_b32_e32 v3, 16, v1
	v_mov_b32_e32 v1, 0
	v_mov_b32_e32 v2, 0
	s_delay_alu instid0(VALU_DEP_3) | instskip(NEXT) | instid1(VALU_DEP_2)
	v_mad_co_u64_u32 v[3:4], null, ttmp9, 3, v[3:4]
	v_dual_mov_b32 v4, v5 :: v_dual_mov_b32 v53, v2
	s_delay_alu instid0(VALU_DEP_1) | instskip(NEXT) | instid1(VALU_DEP_3)
	v_dual_mov_b32 v52, v1 :: v_dual_mov_b32 v59, v4
	v_mov_b32_e32 v58, v3
	s_wait_kmcnt 0x0
	v_cmp_lt_u64_e64 s2, s[10:11], 2
	s_delay_alu instid0(VALU_DEP_1)
	s_and_b32 vcc_lo, exec_lo, s2
	s_cbranch_vccnz .LBB0_8
; %bb.1:
	s_load_b64 s[2:3], s[0:1], 0x10
	v_dual_mov_b32 v1, 0 :: v_dual_mov_b32 v8, v4
	v_dual_mov_b32 v2, 0 :: v_dual_mov_b32 v7, v3
	s_add_nc_u64 s[16:17], s[14:15], 8
	s_add_nc_u64 s[18:19], s[12:13], 8
	s_mov_b64 s[20:21], 1
	s_delay_alu instid0(VALU_DEP_1)
	v_dual_mov_b32 v53, v2 :: v_dual_mov_b32 v52, v1
	s_wait_kmcnt 0x0
	s_add_nc_u64 s[22:23], s[2:3], 8
	s_mov_b32 s3, 0
.LBB0_2:                                ; =>This Inner Loop Header: Depth=1
	s_load_b64 s[24:25], s[22:23], 0x0
                                        ; implicit-def: $vgpr58_vgpr59
	s_mov_b32 s2, exec_lo
	s_wait_kmcnt 0x0
	v_or_b32_e32 v6, s25, v8
	s_delay_alu instid0(VALU_DEP_1)
	v_cmpx_ne_u64_e32 0, v[5:6]
	s_wait_alu 0xfffe
	s_xor_b32 s26, exec_lo, s2
	s_cbranch_execz .LBB0_4
; %bb.3:                                ;   in Loop: Header=BB0_2 Depth=1
	s_cvt_f32_u32 s2, s24
	s_cvt_f32_u32 s27, s25
	s_sub_nc_u64 s[30:31], 0, s[24:25]
	s_wait_alu 0xfffe
	s_delay_alu instid0(SALU_CYCLE_1) | instskip(SKIP_1) | instid1(SALU_CYCLE_2)
	s_fmamk_f32 s2, s27, 0x4f800000, s2
	s_wait_alu 0xfffe
	v_s_rcp_f32 s2, s2
	s_delay_alu instid0(TRANS32_DEP_1) | instskip(SKIP_1) | instid1(SALU_CYCLE_2)
	s_mul_f32 s2, s2, 0x5f7ffffc
	s_wait_alu 0xfffe
	s_mul_f32 s27, s2, 0x2f800000
	s_wait_alu 0xfffe
	s_delay_alu instid0(SALU_CYCLE_2) | instskip(SKIP_1) | instid1(SALU_CYCLE_2)
	s_trunc_f32 s27, s27
	s_wait_alu 0xfffe
	s_fmamk_f32 s2, s27, 0xcf800000, s2
	s_cvt_u32_f32 s29, s27
	s_wait_alu 0xfffe
	s_delay_alu instid0(SALU_CYCLE_1) | instskip(SKIP_1) | instid1(SALU_CYCLE_2)
	s_cvt_u32_f32 s28, s2
	s_wait_alu 0xfffe
	s_mul_u64 s[34:35], s[30:31], s[28:29]
	s_wait_alu 0xfffe
	s_mul_hi_u32 s37, s28, s35
	s_mul_i32 s36, s28, s35
	s_mul_hi_u32 s2, s28, s34
	s_mul_i32 s33, s29, s34
	s_wait_alu 0xfffe
	s_add_nc_u64 s[36:37], s[2:3], s[36:37]
	s_mul_hi_u32 s27, s29, s34
	s_mul_hi_u32 s38, s29, s35
	s_add_co_u32 s2, s36, s33
	s_wait_alu 0xfffe
	s_add_co_ci_u32 s2, s37, s27
	s_mul_i32 s34, s29, s35
	s_add_co_ci_u32 s35, s38, 0
	s_wait_alu 0xfffe
	s_add_nc_u64 s[34:35], s[2:3], s[34:35]
	s_wait_alu 0xfffe
	v_add_co_u32 v4, s2, s28, s34
	s_delay_alu instid0(VALU_DEP_1) | instskip(SKIP_1) | instid1(VALU_DEP_1)
	s_cmp_lg_u32 s2, 0
	s_add_co_ci_u32 s29, s29, s35
	v_readfirstlane_b32 s28, v4
	s_wait_alu 0xfffe
	s_delay_alu instid0(VALU_DEP_1)
	s_mul_u64 s[30:31], s[30:31], s[28:29]
	s_wait_alu 0xfffe
	s_mul_hi_u32 s35, s28, s31
	s_mul_i32 s34, s28, s31
	s_mul_hi_u32 s2, s28, s30
	s_mul_i32 s33, s29, s30
	s_wait_alu 0xfffe
	s_add_nc_u64 s[34:35], s[2:3], s[34:35]
	s_mul_hi_u32 s27, s29, s30
	s_mul_hi_u32 s28, s29, s31
	s_wait_alu 0xfffe
	s_add_co_u32 s2, s34, s33
	s_add_co_ci_u32 s2, s35, s27
	s_mul_i32 s30, s29, s31
	s_add_co_ci_u32 s31, s28, 0
	s_wait_alu 0xfffe
	s_add_nc_u64 s[30:31], s[2:3], s[30:31]
	s_wait_alu 0xfffe
	v_add_co_u32 v4, s2, v4, s30
	s_delay_alu instid0(VALU_DEP_1) | instskip(SKIP_1) | instid1(VALU_DEP_1)
	s_cmp_lg_u32 s2, 0
	s_add_co_ci_u32 s2, s29, s31
	v_mul_hi_u32 v6, v7, v4
	s_wait_alu 0xfffe
	v_mad_co_u64_u32 v[9:10], null, v7, s2, 0
	v_mad_co_u64_u32 v[11:12], null, v8, v4, 0
	;; [unrolled: 1-line block ×3, first 2 shown]
	s_delay_alu instid0(VALU_DEP_3) | instskip(SKIP_1) | instid1(VALU_DEP_4)
	v_add_co_u32 v4, vcc_lo, v6, v9
	s_wait_alu 0xfffd
	v_add_co_ci_u32_e32 v6, vcc_lo, 0, v10, vcc_lo
	s_delay_alu instid0(VALU_DEP_2) | instskip(SKIP_1) | instid1(VALU_DEP_2)
	v_add_co_u32 v4, vcc_lo, v4, v11
	s_wait_alu 0xfffd
	v_add_co_ci_u32_e32 v4, vcc_lo, v6, v12, vcc_lo
	s_wait_alu 0xfffd
	v_add_co_ci_u32_e32 v6, vcc_lo, 0, v14, vcc_lo
	s_delay_alu instid0(VALU_DEP_2) | instskip(SKIP_1) | instid1(VALU_DEP_2)
	v_add_co_u32 v4, vcc_lo, v4, v13
	s_wait_alu 0xfffd
	v_add_co_ci_u32_e32 v6, vcc_lo, 0, v6, vcc_lo
	s_delay_alu instid0(VALU_DEP_2) | instskip(SKIP_1) | instid1(VALU_DEP_3)
	v_mul_lo_u32 v11, s25, v4
	v_mad_co_u64_u32 v[9:10], null, s24, v4, 0
	v_mul_lo_u32 v12, s24, v6
	s_delay_alu instid0(VALU_DEP_2) | instskip(NEXT) | instid1(VALU_DEP_2)
	v_sub_co_u32 v9, vcc_lo, v7, v9
	v_add3_u32 v10, v10, v12, v11
	s_delay_alu instid0(VALU_DEP_1) | instskip(SKIP_1) | instid1(VALU_DEP_1)
	v_sub_nc_u32_e32 v11, v8, v10
	s_wait_alu 0xfffd
	v_subrev_co_ci_u32_e64 v11, s2, s25, v11, vcc_lo
	v_add_co_u32 v12, s2, v4, 2
	s_wait_alu 0xf1ff
	v_add_co_ci_u32_e64 v13, s2, 0, v6, s2
	v_sub_co_u32 v14, s2, v9, s24
	v_sub_co_ci_u32_e32 v10, vcc_lo, v8, v10, vcc_lo
	s_wait_alu 0xf1ff
	v_subrev_co_ci_u32_e64 v11, s2, 0, v11, s2
	s_delay_alu instid0(VALU_DEP_3) | instskip(NEXT) | instid1(VALU_DEP_3)
	v_cmp_le_u32_e32 vcc_lo, s24, v14
	v_cmp_eq_u32_e64 s2, s25, v10
	s_wait_alu 0xfffd
	v_cndmask_b32_e64 v14, 0, -1, vcc_lo
	v_cmp_le_u32_e32 vcc_lo, s25, v11
	s_wait_alu 0xfffd
	v_cndmask_b32_e64 v15, 0, -1, vcc_lo
	v_cmp_le_u32_e32 vcc_lo, s24, v9
	;; [unrolled: 3-line block ×3, first 2 shown]
	s_wait_alu 0xfffd
	v_cndmask_b32_e64 v16, 0, -1, vcc_lo
	v_cmp_eq_u32_e32 vcc_lo, s25, v11
	s_wait_alu 0xf1ff
	s_delay_alu instid0(VALU_DEP_2)
	v_cndmask_b32_e64 v9, v16, v9, s2
	s_wait_alu 0xfffd
	v_cndmask_b32_e32 v11, v15, v14, vcc_lo
	v_add_co_u32 v14, vcc_lo, v4, 1
	s_wait_alu 0xfffd
	v_add_co_ci_u32_e32 v15, vcc_lo, 0, v6, vcc_lo
	s_delay_alu instid0(VALU_DEP_3) | instskip(SKIP_1) | instid1(VALU_DEP_2)
	v_cmp_ne_u32_e32 vcc_lo, 0, v11
	s_wait_alu 0xfffd
	v_dual_cndmask_b32 v10, v15, v13 :: v_dual_cndmask_b32 v11, v14, v12
	v_cmp_ne_u32_e32 vcc_lo, 0, v9
	s_wait_alu 0xfffd
	s_delay_alu instid0(VALU_DEP_2)
	v_dual_cndmask_b32 v59, v6, v10 :: v_dual_cndmask_b32 v58, v4, v11
.LBB0_4:                                ;   in Loop: Header=BB0_2 Depth=1
	s_wait_alu 0xfffe
	s_and_not1_saveexec_b32 s2, s26
	s_cbranch_execz .LBB0_6
; %bb.5:                                ;   in Loop: Header=BB0_2 Depth=1
	v_cvt_f32_u32_e32 v4, s24
	s_sub_co_i32 s26, 0, s24
	v_mov_b32_e32 v59, v5
	s_delay_alu instid0(VALU_DEP_2) | instskip(NEXT) | instid1(TRANS32_DEP_1)
	v_rcp_iflag_f32_e32 v4, v4
	v_mul_f32_e32 v4, 0x4f7ffffe, v4
	s_delay_alu instid0(VALU_DEP_1) | instskip(SKIP_1) | instid1(VALU_DEP_1)
	v_cvt_u32_f32_e32 v4, v4
	s_wait_alu 0xfffe
	v_mul_lo_u32 v6, s26, v4
	s_delay_alu instid0(VALU_DEP_1) | instskip(NEXT) | instid1(VALU_DEP_1)
	v_mul_hi_u32 v6, v4, v6
	v_add_nc_u32_e32 v4, v4, v6
	s_delay_alu instid0(VALU_DEP_1) | instskip(NEXT) | instid1(VALU_DEP_1)
	v_mul_hi_u32 v4, v7, v4
	v_mul_lo_u32 v6, v4, s24
	s_delay_alu instid0(VALU_DEP_1) | instskip(NEXT) | instid1(VALU_DEP_1)
	v_sub_nc_u32_e32 v6, v7, v6
	v_subrev_nc_u32_e32 v10, s24, v6
	v_cmp_le_u32_e32 vcc_lo, s24, v6
	s_wait_alu 0xfffd
	s_delay_alu instid0(VALU_DEP_2) | instskip(NEXT) | instid1(VALU_DEP_1)
	v_dual_cndmask_b32 v6, v6, v10 :: v_dual_add_nc_u32 v9, 1, v4
	v_cndmask_b32_e32 v4, v4, v9, vcc_lo
	s_delay_alu instid0(VALU_DEP_2) | instskip(NEXT) | instid1(VALU_DEP_2)
	v_cmp_le_u32_e32 vcc_lo, s24, v6
	v_add_nc_u32_e32 v9, 1, v4
	s_wait_alu 0xfffd
	s_delay_alu instid0(VALU_DEP_1)
	v_cndmask_b32_e32 v58, v4, v9, vcc_lo
.LBB0_6:                                ;   in Loop: Header=BB0_2 Depth=1
	s_wait_alu 0xfffe
	s_or_b32 exec_lo, exec_lo, s2
	v_mul_lo_u32 v4, v59, s24
	s_delay_alu instid0(VALU_DEP_2)
	v_mul_lo_u32 v6, v58, s25
	s_load_b64 s[26:27], s[18:19], 0x0
	v_mad_co_u64_u32 v[9:10], null, v58, s24, 0
	s_load_b64 s[24:25], s[16:17], 0x0
	s_add_nc_u64 s[20:21], s[20:21], 1
	s_add_nc_u64 s[16:17], s[16:17], 8
	s_wait_alu 0xfffe
	v_cmp_ge_u64_e64 s2, s[20:21], s[10:11]
	s_add_nc_u64 s[18:19], s[18:19], 8
	s_add_nc_u64 s[22:23], s[22:23], 8
	v_add3_u32 v4, v10, v6, v4
	v_sub_co_u32 v6, vcc_lo, v7, v9
	s_wait_alu 0xfffd
	s_delay_alu instid0(VALU_DEP_2) | instskip(SKIP_2) | instid1(VALU_DEP_1)
	v_sub_co_ci_u32_e32 v4, vcc_lo, v8, v4, vcc_lo
	s_and_b32 vcc_lo, exec_lo, s2
	s_wait_kmcnt 0x0
	v_mul_lo_u32 v7, s26, v4
	v_mul_lo_u32 v8, s27, v6
	v_mad_co_u64_u32 v[1:2], null, s26, v6, v[1:2]
	v_mul_lo_u32 v4, s24, v4
	v_mul_lo_u32 v9, s25, v6
	v_mad_co_u64_u32 v[52:53], null, s24, v6, v[52:53]
	s_delay_alu instid0(VALU_DEP_4) | instskip(NEXT) | instid1(VALU_DEP_2)
	v_add3_u32 v2, v8, v2, v7
	v_add3_u32 v53, v9, v53, v4
	s_wait_alu 0xfffe
	s_cbranch_vccnz .LBB0_8
; %bb.7:                                ;   in Loop: Header=BB0_2 Depth=1
	v_dual_mov_b32 v7, v58 :: v_dual_mov_b32 v8, v59
	s_branch .LBB0_2
.LBB0_8:
	s_load_b64 s[0:1], s[0:1], 0x28
	v_mul_hi_u32 v4, 0xaaaaaaab, v3
	s_lshl_b64 s[10:11], s[10:11], 3
                                        ; implicit-def: $vgpr54
                                        ; implicit-def: $vgpr56
                                        ; implicit-def: $vgpr66
                                        ; implicit-def: $vgpr64
                                        ; implicit-def: $vgpr62
                                        ; implicit-def: $vgpr60
	s_delay_alu instid0(VALU_DEP_1) | instskip(NEXT) | instid1(VALU_DEP_1)
	v_lshrrev_b32_e32 v4, 1, v4
	v_lshl_add_u32 v5, v4, 1, v4
	v_mul_hi_u32 v4, 0x3483484, v0
	s_delay_alu instid0(VALU_DEP_2) | instskip(SKIP_3) | instid1(VALU_DEP_1)
	v_sub_nc_u32_e32 v3, v3, v5
	s_wait_kmcnt 0x0
	v_cmp_gt_u64_e32 vcc_lo, s[0:1], v[58:59]
	v_cmp_le_u64_e64 s0, s[0:1], v[58:59]
	s_and_saveexec_b32 s1, s0
	s_wait_alu 0xfffe
	s_xor_b32 s0, exec_lo, s1
; %bb.9:
	v_mul_u32_u24_e32 v1, 0x4e, v4
                                        ; implicit-def: $vgpr4
	s_delay_alu instid0(VALU_DEP_1) | instskip(NEXT) | instid1(VALU_DEP_1)
	v_sub_nc_u32_e32 v54, v0, v1
                                        ; implicit-def: $vgpr0
                                        ; implicit-def: $vgpr1_vgpr2
	v_add_nc_u32_e32 v56, 0x4e, v54
	v_add_nc_u32_e32 v66, 0x9c, v54
	;; [unrolled: 1-line block ×5, first 2 shown]
; %bb.10:
	s_wait_alu 0xfffe
	s_or_saveexec_b32 s1, s0
	v_mul_u32_u24_e32 v3, 0x3a9, v3
	s_add_nc_u64 s[2:3], s[14:15], s[10:11]
	s_delay_alu instid0(VALU_DEP_1)
	v_lshlrev_b32_e32 v63, 4, v3
	s_wait_alu 0xfffe
	s_xor_b32 exec_lo, exec_lo, s1
	s_cbranch_execz .LBB0_12
; %bb.11:
	s_add_nc_u64 s[10:11], s[12:13], s[10:11]
	v_lshlrev_b64_e32 v[1:2], 4, v[1:2]
	s_load_b64 s[10:11], s[10:11], 0x0
	s_wait_kmcnt 0x0
	v_mul_lo_u32 v3, s11, v58
	v_mul_lo_u32 v7, s10, v59
	v_mad_co_u64_u32 v[5:6], null, s10, v58, 0
	s_delay_alu instid0(VALU_DEP_1) | instskip(SKIP_1) | instid1(VALU_DEP_2)
	v_add3_u32 v6, v6, v7, v3
	v_mul_u32_u24_e32 v7, 0x4e, v4
	v_lshlrev_b64_e32 v[3:4], 4, v[5:6]
	s_delay_alu instid0(VALU_DEP_2) | instskip(NEXT) | instid1(VALU_DEP_1)
	v_sub_nc_u32_e32 v54, v0, v7
	v_lshlrev_b32_e32 v48, 4, v54
	s_delay_alu instid0(VALU_DEP_3) | instskip(SKIP_1) | instid1(VALU_DEP_4)
	v_add_co_u32 v0, s0, s4, v3
	s_wait_alu 0xf1ff
	v_add_co_ci_u32_e64 v3, s0, s5, v4, s0
	v_add_nc_u32_e32 v56, 0x4e, v54
	s_delay_alu instid0(VALU_DEP_3) | instskip(SKIP_1) | instid1(VALU_DEP_3)
	v_add_co_u32 v0, s0, v0, v1
	s_wait_alu 0xf1ff
	v_add_co_ci_u32_e64 v1, s0, v3, v2, s0
	v_add_nc_u32_e32 v66, 0x9c, v54
	s_delay_alu instid0(VALU_DEP_3) | instskip(SKIP_1) | instid1(VALU_DEP_3)
	v_add_co_u32 v44, s0, v0, v48
	s_wait_alu 0xf1ff
	v_add_co_ci_u32_e64 v45, s0, 0, v1, s0
	s_clause 0xb
	global_load_b128 v[0:3], v[44:45], off
	global_load_b128 v[4:7], v[44:45], off offset:1248
	global_load_b128 v[8:11], v[44:45], off offset:2496
	;; [unrolled: 1-line block ×11, first 2 shown]
	v_add3_u32 v48, 0, v63, v48
	v_add_nc_u32_e32 v64, 0xea, v54
	v_add_nc_u32_e32 v62, 0x138, v54
	;; [unrolled: 1-line block ×3, first 2 shown]
	s_wait_loadcnt 0xb
	ds_store_b128 v48, v[0:3]
	s_wait_loadcnt 0xa
	ds_store_b128 v48, v[4:7] offset:1248
	s_wait_loadcnt 0x9
	ds_store_b128 v48, v[8:11] offset:2496
	;; [unrolled: 2-line block ×11, first 2 shown]
.LBB0_12:
	s_or_b32 exec_lo, exec_lo, s1
	v_lshlrev_b32_e32 v55, 4, v54
	v_add_nc_u32_e32 v129, 0, v63
	s_load_b64 s[2:3], s[2:3], 0x0
	global_wb scope:SCOPE_SE
	s_wait_dscnt 0x0
	s_wait_kmcnt 0x0
	s_barrier_signal -1
	v_add3_u32 v57, 0, v55, v63
	v_add_nc_u32_e32 v61, v129, v55
	s_barrier_wait -1
	global_inv scope:SCOPE_SE
	v_and_b32_e32 v75, 1, v54
	ds_load_b128 v[0:3], v57 offset:7488
	ds_load_b128 v[4:7], v61
	ds_load_b128 v[8:11], v57 offset:1248
	ds_load_b128 v[12:15], v57 offset:8736
	;; [unrolled: 1-line block ×10, first 2 shown]
	v_add_nc_u32_e32 v49, v57, v55
	v_lshl_add_u32 v65, v56, 5, v129
	v_lshl_add_u32 v67, v66, 5, v129
	v_lshlrev_b32_e32 v48, 4, v75
	v_lshl_add_u32 v68, v64, 5, v129
	v_lshl_add_u32 v69, v62, 5, v129
	;; [unrolled: 1-line block ×3, first 2 shown]
	global_wb scope:SCOPE_SE
	s_wait_dscnt 0x0
	s_barrier_signal -1
	v_add_f64_e64 v[0:1], v[4:5], -v[0:1]
	v_add_f64_e64 v[2:3], v[6:7], -v[2:3]
	;; [unrolled: 1-line block ×12, first 2 shown]
	s_barrier_wait -1
	global_inv scope:SCOPE_SE
	v_lshlrev_b32_e32 v76, 4, v56
	v_cmp_gt_u32_e64 s0, 0x48, v54
	s_delay_alu instid0(VALU_DEP_2)
	v_sub_nc_u32_e32 v131, v65, v76
	v_fma_f64 v[4:5], v[4:5], 2.0, -v[0:1]
	v_fma_f64 v[6:7], v[6:7], 2.0, -v[2:3]
	;; [unrolled: 1-line block ×12, first 2 shown]
	ds_store_b128 v49, v[4:7]
	ds_store_b128 v49, v[0:3] offset:16
	ds_store_b128 v65, v[8:11]
	ds_store_b128 v65, v[12:15] offset:16
	;; [unrolled: 2-line block ×6, first 2 shown]
	global_wb scope:SCOPE_SE
	s_wait_dscnt 0x0
	s_barrier_signal -1
	s_barrier_wait -1
	global_inv scope:SCOPE_SE
	global_load_b128 v[0:3], v48, s[8:9]
	ds_load_b128 v[4:7], v57 offset:7488
	ds_load_b128 v[8:11], v57 offset:8736
	;; [unrolled: 1-line block ×6, first 2 shown]
	s_wait_loadcnt_dscnt 0x5
	v_mul_f64_e32 v[28:29], v[6:7], v[2:3]
	v_mul_f64_e32 v[30:31], v[4:5], v[2:3]
	s_wait_dscnt 0x4
	v_mul_f64_e32 v[32:33], v[10:11], v[2:3]
	v_mul_f64_e32 v[34:35], v[8:9], v[2:3]
	s_wait_dscnt 0x3
	;; [unrolled: 3-line block ×5, first 2 shown]
	v_mul_f64_e32 v[48:49], v[26:27], v[2:3]
	v_mul_f64_e32 v[2:3], v[24:25], v[2:3]
	v_fma_f64 v[4:5], v[4:5], v[0:1], v[28:29]
	v_fma_f64 v[6:7], v[6:7], v[0:1], -v[30:31]
	v_fma_f64 v[8:9], v[8:9], v[0:1], v[32:33]
	v_fma_f64 v[10:11], v[10:11], v[0:1], -v[34:35]
	v_fma_f64 v[28:29], v[12:13], v[0:1], v[36:37]
	v_fma_f64 v[30:31], v[14:15], v[0:1], -v[38:39]
	v_fma_f64 v[50:51], v[16:17], v[0:1], v[40:41]
	v_fma_f64 v[71:72], v[18:19], v[0:1], -v[42:43]
	v_fma_f64 v[44:45], v[20:21], v[0:1], v[44:45]
	v_fma_f64 v[46:47], v[22:23], v[0:1], -v[46:47]
	v_fma_f64 v[48:49], v[24:25], v[0:1], v[48:49]
	v_fma_f64 v[73:74], v[26:27], v[0:1], -v[2:3]
	v_lshlrev_b32_e32 v12, 4, v66
	v_lshlrev_b32_e32 v13, 4, v64
	;; [unrolled: 1-line block ×3, first 2 shown]
	ds_load_b128 v[0:3], v61
	ds_load_b128 v[16:19], v131
	v_sub_nc_u32_e32 v130, v67, v12
	v_lshlrev_b32_e32 v12, 4, v60
	v_sub_nc_u32_e32 v65, v68, v13
	v_sub_nc_u32_e32 v132, v69, v14
	ds_load_b128 v[20:23], v130
	v_sub_nc_u32_e32 v133, v70, v12
	ds_load_b128 v[36:39], v65
	ds_load_b128 v[40:43], v132
	;; [unrolled: 1-line block ×3, first 2 shown]
	global_wb scope:SCOPE_SE
	s_wait_dscnt 0x0
	s_barrier_signal -1
	s_barrier_wait -1
	global_inv scope:SCOPE_SE
	v_add_f64_e64 v[4:5], v[0:1], -v[4:5]
	v_add_f64_e64 v[6:7], v[2:3], -v[6:7]
	;; [unrolled: 1-line block ×12, first 2 shown]
	v_lshlrev_b32_e32 v72, 1, v54
	v_lshlrev_b32_e32 v71, 1, v56
	v_fma_f64 v[0:1], v[0:1], 2.0, -v[4:5]
	v_fma_f64 v[2:3], v[2:3], 2.0, -v[6:7]
	v_fma_f64 v[28:29], v[16:17], 2.0, -v[12:13]
	v_fma_f64 v[30:31], v[18:19], 2.0, -v[14:15]
	v_fma_f64 v[16:17], v[20:21], 2.0, -v[32:33]
	v_fma_f64 v[18:19], v[22:23], 2.0, -v[34:35]
	v_fma_f64 v[20:21], v[36:37], 2.0, -v[8:9]
	v_fma_f64 v[22:23], v[38:39], 2.0, -v[10:11]
	v_fma_f64 v[44:45], v[40:41], 2.0, -v[24:25]
	v_fma_f64 v[46:47], v[42:43], 2.0, -v[26:27]
	v_fma_f64 v[40:41], v[67:68], 2.0, -v[48:49]
	v_fma_f64 v[42:43], v[69:70], 2.0, -v[50:51]
	v_lshlrev_b32_e32 v36, 1, v62
	v_lshlrev_b32_e32 v37, 1, v60
	;; [unrolled: 1-line block ×4, first 2 shown]
	v_and_or_b32 v38, 0xfc, v72, v75
	v_and_or_b32 v36, 0x3fc, v36, v75
	;; [unrolled: 1-line block ×6, first 2 shown]
	v_lshl_add_u32 v38, v38, 4, v129
	v_lshl_add_u32 v36, v36, 4, v129
	;; [unrolled: 1-line block ×6, first 2 shown]
	ds_store_b128 v38, v[0:3]
	ds_store_b128 v38, v[4:7] offset:32
	ds_store_b128 v39, v[28:31]
	ds_store_b128 v39, v[12:15] offset:32
	;; [unrolled: 2-line block ×6, first 2 shown]
	global_wb scope:SCOPE_SE
	s_wait_dscnt 0x0
	s_barrier_signal -1
	s_barrier_wait -1
	global_inv scope:SCOPE_SE
                                        ; implicit-def: $vgpr38_vgpr39
	s_and_saveexec_b32 s1, s0
	s_cbranch_execz .LBB0_14
; %bb.13:
	ds_load_b128 v[0:3], v61
	ds_load_b128 v[4:7], v57 offset:1152
	ds_load_b128 v[28:31], v57 offset:2304
	;; [unrolled: 1-line block ×12, first 2 shown]
.LBB0_14:
	s_wait_alu 0xfffe
	s_or_b32 exec_lo, exec_lo, s1
	global_wb scope:SCOPE_SE
	s_wait_dscnt 0x0
	s_barrier_signal -1
	s_barrier_wait -1
	global_inv scope:SCOPE_SE
	s_and_saveexec_b32 s33, s0
	s_cbranch_execz .LBB0_16
; %bb.15:
	v_and_b32_e32 v68, 3, v54
	s_mov_b32 s35, 0x3fddbe06
	s_mov_b32 s34, 0x4267c47c
	;; [unrolled: 1-line block ×4, first 2 shown]
	v_mul_u32_u24_e32 v70, 12, v68
	s_mov_b32 s20, 0x42a4c3d2
	s_mov_b32 s14, 0x24c2f84
	;; [unrolled: 1-line block ×4, first 2 shown]
	v_lshlrev_b32_e32 v70, 4, v70
	s_mov_b32 s17, 0xbfedeba7
	s_mov_b32 s21, 0x3fea55e2
	s_mov_b32 s15, 0xbfe5384d
	s_mov_b32 s27, 0xbfcea1e5
	s_clause 0x1
	global_load_b128 v[75:78], v70, s[8:9] offset:96
	global_load_b128 v[79:82], v70, s[8:9] offset:112
	s_mov_b32 s31, 0xbfea55e2
	s_mov_b32 s29, 0xbfefc445
	s_wait_alu 0xfffe
	s_mov_b32 s30, s20
	s_mov_b32 s28, s18
	;; [unrolled: 1-line block ×16, first 2 shown]
	s_wait_loadcnt 0x1
	v_mul_f64_e32 v[73:74], v[34:35], v[77:78]
	s_delay_alu instid0(VALU_DEP_1) | instskip(SKIP_1) | instid1(VALU_DEP_1)
	v_fma_f64 v[73:74], v[32:33], v[75:76], v[73:74]
	v_mul_f64_e32 v[32:33], v[32:33], v[77:78]
	v_fma_f64 v[34:35], v[34:35], v[75:76], -v[32:33]
	s_clause 0x1
	global_load_b128 v[75:78], v70, s[8:9] offset:144
	global_load_b128 v[83:86], v70, s[8:9] offset:128
	s_wait_loadcnt 0x1
	v_mul_f64_e32 v[32:33], v[46:47], v[77:78]
	s_delay_alu instid0(VALU_DEP_1) | instskip(SKIP_1) | instid1(VALU_DEP_1)
	v_fma_f64 v[32:33], v[44:45], v[75:76], v[32:33]
	v_mul_f64_e32 v[44:45], v[44:45], v[77:78]
	v_fma_f64 v[44:45], v[46:47], v[75:76], -v[44:45]
	s_clause 0x3
	global_load_b128 v[75:78], v70, s[8:9] offset:48
	global_load_b128 v[87:90], v70, s[8:9] offset:32
	;; [unrolled: 1-line block ×4, first 2 shown]
	s_wait_loadcnt 0x3
	v_mul_f64_e32 v[46:47], v[30:31], v[77:78]
	s_delay_alu instid0(VALU_DEP_1) | instskip(SKIP_1) | instid1(VALU_DEP_1)
	v_fma_f64 v[46:47], v[28:29], v[75:76], v[46:47]
	v_mul_f64_e32 v[28:29], v[28:29], v[77:78]
	v_fma_f64 v[75:76], v[30:31], v[75:76], -v[28:29]
	s_wait_loadcnt 0x1
	v_mul_f64_e32 v[28:29], v[50:51], v[93:94]
	v_mul_f64_e32 v[30:31], v[48:49], v[93:94]
	s_delay_alu instid0(VALU_DEP_2) | instskip(NEXT) | instid1(VALU_DEP_2)
	v_fma_f64 v[28:29], v[48:49], v[91:92], v[28:29]
	v_fma_f64 v[30:31], v[50:51], v[91:92], -v[30:31]
	global_load_b128 v[91:94], v70, s[8:9] offset:64
	s_wait_loadcnt 0x0
	v_mul_f64_e32 v[48:49], v[14:15], v[93:94]
	s_delay_alu instid0(VALU_DEP_1) | instskip(SKIP_1) | instid1(VALU_DEP_1)
	v_fma_f64 v[48:49], v[12:13], v[91:92], v[48:49]
	v_mul_f64_e32 v[12:13], v[12:13], v[93:94]
	v_fma_f64 v[14:15], v[14:15], v[91:92], -v[12:13]
	s_clause 0x1
	global_load_b128 v[91:94], v70, s[8:9] offset:176
	global_load_b128 v[101:104], v70, s[8:9] offset:160
	s_wait_loadcnt 0x1
	v_mul_f64_e32 v[12:13], v[42:43], v[93:94]
	s_delay_alu instid0(VALU_DEP_1) | instskip(SKIP_1) | instid1(VALU_DEP_1)
	v_fma_f64 v[12:13], v[40:41], v[91:92], v[12:13]
	v_mul_f64_e32 v[40:41], v[40:41], v[93:94]
	v_fma_f64 v[40:41], v[42:43], v[91:92], -v[40:41]
	global_load_b128 v[91:94], v70, s[8:9] offset:80
	s_wait_loadcnt 0x0
	v_mul_f64_e32 v[42:43], v[18:19], v[93:94]
	s_delay_alu instid0(VALU_DEP_1) | instskip(SKIP_1) | instid1(VALU_DEP_1)
	v_fma_f64 v[42:43], v[16:17], v[91:92], v[42:43]
	v_mul_f64_e32 v[16:17], v[16:17], v[93:94]
	v_fma_f64 v[50:51], v[18:19], v[91:92], -v[16:17]
	v_mul_f64_e32 v[16:17], v[26:27], v[103:104]
	v_mul_f64_e32 v[18:19], v[24:25], v[103:104]
	s_delay_alu instid0(VALU_DEP_2) | instskip(SKIP_1) | instid1(VALU_DEP_3)
	v_fma_f64 v[16:17], v[24:25], v[101:102], v[16:17]
	v_mul_f64_e32 v[24:25], v[22:23], v[81:82]
	v_fma_f64 v[18:19], v[26:27], v[101:102], -v[18:19]
	v_add_f64_e64 v[26:27], v[34:35], -v[44:45]
	s_delay_alu instid0(VALU_DEP_3) | instskip(SKIP_2) | instid1(VALU_DEP_4)
	v_fma_f64 v[24:25], v[20:21], v[79:80], v[24:25]
	v_mul_f64_e32 v[20:21], v[20:21], v[81:82]
	v_add_f64_e64 v[81:82], v[42:43], -v[16:17]
	v_mul_f64_e32 v[109:110], s[34:35], v[26:27]
	v_mul_f64_e32 v[188:189], s[16:17], v[26:27]
	;; [unrolled: 1-line block ×3, first 2 shown]
	v_fma_f64 v[22:23], v[22:23], v[79:80], -v[20:21]
	v_mul_f64_e32 v[20:21], v[10:11], v[85:86]
	v_add_f64_e64 v[79:80], v[50:51], -v[18:19]
	v_mul_f64_e32 v[202:203], s[36:37], v[81:82]
	s_delay_alu instid0(VALU_DEP_3) | instskip(SKIP_3) | instid1(VALU_DEP_4)
	v_fma_f64 v[20:21], v[8:9], v[83:84], v[20:21]
	v_mul_f64_e32 v[8:9], v[8:9], v[85:86]
	v_add_f64_e64 v[85:86], v[48:49], -v[12:13]
	v_mul_f64_e32 v[204:205], s[36:37], v[79:80]
	v_add_f64_e32 v[196:197], v[24:25], v[20:21]
	s_delay_alu instid0(VALU_DEP_4) | instskip(SKIP_3) | instid1(VALU_DEP_4)
	v_fma_f64 v[8:9], v[10:11], v[83:84], -v[8:9]
	v_mul_f64_e32 v[10:11], v[6:7], v[89:90]
	v_add_f64_e64 v[83:84], v[14:15], -v[40:41]
	v_mul_f64_e32 v[101:102], s[34:35], v[85:86]
	v_add_f64_e64 v[77:78], v[22:23], -v[8:9]
	s_delay_alu instid0(VALU_DEP_4)
	v_fma_f64 v[10:11], v[4:5], v[87:88], v[10:11]
	v_mul_f64_e32 v[4:5], v[4:5], v[89:90]
	v_add_f64_e64 v[89:90], v[46:47], -v[28:29]
	v_mul_f64_e32 v[103:104], s[34:35], v[83:84]
	v_add_f64_e32 v[192:193], v[22:23], v[8:9]
	v_mul_f64_e32 v[200:201], s[26:27], v[83:84]
	v_mul_f64_e32 v[93:94], s[34:35], v[77:78]
	;; [unrolled: 1-line block ×3, first 2 shown]
	v_fma_f64 v[95:96], v[6:7], v[87:88], -v[4:5]
	v_mul_f64_e32 v[4:5], v[38:39], v[99:100]
	v_mul_f64_e32 v[6:7], v[36:37], v[99:100]
	v_add_f64_e64 v[87:88], v[75:76], -v[30:31]
	v_mul_f64_e32 v[138:139], s[34:35], v[89:90]
	v_mul_f64_e32 v[99:100], s[34:35], v[79:80]
	v_mul_f64_e32 v[210:211], s[26:27], v[89:90]
	v_mul_f64_e32 v[222:223], s[14:15], v[77:78]
	v_fma_f64 v[4:5], v[36:37], v[97:98], v[4:5]
	v_fma_f64 v[6:7], v[38:39], v[97:98], -v[6:7]
	v_add_f64_e64 v[38:39], v[73:74], -v[32:33]
	v_add_f64_e64 v[36:37], v[24:25], -v[20:21]
	v_mul_f64_e32 v[140:141], s[34:35], v[87:88]
	v_mul_f64_e32 v[97:98], s[34:35], v[81:82]
	v_add_f64_e64 v[105:106], v[10:11], -v[4:5]
	v_add_f64_e32 v[121:122], v[95:96], v[6:7]
	v_mul_f64_e32 v[111:112], s[34:35], v[38:39]
	v_mul_f64_e32 v[91:92], s[34:35], v[36:37]
	s_mov_b32 s35, 0xbfddbe06
	v_add_f64_e32 v[154:155], v[10:11], v[4:5]
	v_add_f64_e32 v[10:11], v[0:1], v[10:11]
	v_mul_f64_e32 v[184:185], s[16:17], v[38:39]
	v_mul_f64_e32 v[194:195], s[18:19], v[36:37]
	;; [unrolled: 1-line block ×7, first 2 shown]
	s_wait_alu 0xfffe
	v_mul_f64_e32 v[117:118], s[28:29], v[105:106]
	v_mul_f64_e32 v[119:120], s[30:31], v[105:106]
	;; [unrolled: 1-line block ×3, first 2 shown]
	v_add_f64_e32 v[10:11], v[10:11], v[46:47]
	v_fma_f64 v[123:124], v[121:122], s[22:23], v[107:108]
	v_fma_f64 v[107:108], v[121:122], s[22:23], -v[107:108]
	v_fma_f64 v[125:126], v[121:122], s[4:5], v[113:114]
	v_fma_f64 v[113:114], v[121:122], s[4:5], -v[113:114]
	;; [unrolled: 2-line block ×6, first 2 shown]
	v_add_f64_e64 v[105:106], v[95:96], -v[6:7]
	v_add_f64_e32 v[95:96], v[2:3], v[95:96]
	v_add_f64_e32 v[10:11], v[10:11], v[48:49]
	;; [unrolled: 1-line block ×10, first 2 shown]
	v_mul_f64_e32 v[144:145], s[26:27], v[105:106]
	v_mul_f64_e32 v[146:147], s[14:15], v[105:106]
	;; [unrolled: 1-line block ×6, first 2 shown]
	s_mov_b32 s35, 0x3fcea1e5
	s_mov_b32 s34, s26
	v_add_f64_e32 v[10:11], v[10:11], v[42:43]
	v_fma_f64 v[156:157], v[154:155], s[22:23], -v[144:145]
	v_fma_f64 v[144:145], v[154:155], s[22:23], v[144:145]
	v_fma_f64 v[158:159], v[154:155], s[4:5], -v[146:147]
	v_fma_f64 v[146:147], v[154:155], s[4:5], v[146:147]
	;; [unrolled: 2-line block ×6, first 2 shown]
	v_add_f64_e32 v[105:106], v[2:3], v[142:143]
	v_mul_f64_e32 v[142:143], s[14:15], v[85:86]
	v_add_f64_e32 v[10:11], v[10:11], v[73:74]
	v_add_f64_e32 v[156:157], v[0:1], v[156:157]
	;; [unrolled: 1-line block ×20, first 2 shown]
	s_delay_alu instid0(VALU_DEP_4) | instskip(SKIP_1) | instid1(VALU_DEP_2)
	v_fma_f64 v[119:120], v[0:1], s[24:25], v[138:139]
	v_fma_f64 v[138:139], v[0:1], s[24:25], -v[138:139]
	v_add_f64_e32 v[134:135], v[119:120], v[168:169]
	v_add_f64_e32 v[119:120], v[46:47], v[28:29]
	;; [unrolled: 1-line block ×3, first 2 shown]
	s_delay_alu instid0(VALU_DEP_4) | instskip(NEXT) | instid1(VALU_DEP_3)
	v_add_f64_e32 v[138:139], v[138:139], v[170:171]
	v_fma_f64 v[121:122], v[119:120], s[24:25], -v[140:141]
	v_fma_f64 v[140:141], v[119:120], s[24:25], v[140:141]
	s_delay_alu instid0(VALU_DEP_2) | instskip(SKIP_1) | instid1(VALU_DEP_3)
	v_add_f64_e32 v[136:137], v[121:122], v[156:157]
	v_add_f64_e32 v[121:122], v[14:15], v[40:41]
	;; [unrolled: 1-line block ×3, first 2 shown]
	v_fma_f64 v[144:145], v[196:197], s[10:11], v[198:199]
	s_delay_alu instid0(VALU_DEP_3) | instskip(SKIP_1) | instid1(VALU_DEP_2)
	v_fma_f64 v[148:149], v[121:122], s[4:5], v[142:143]
	v_fma_f64 v[142:143], v[121:122], s[4:5], -v[142:143]
	v_add_f64_e32 v[134:135], v[148:149], v[134:135]
	v_mul_f64_e32 v[148:149], s[14:15], v[83:84]
	s_delay_alu instid0(VALU_DEP_3) | instskip(NEXT) | instid1(VALU_DEP_2)
	v_add_f64_e32 v[138:139], v[142:143], v[138:139]
	v_fma_f64 v[154:155], v[164:165], s[4:5], -v[148:149]
	v_fma_f64 v[142:143], v[164:165], s[4:5], v[148:149]
	v_mul_f64_e32 v[148:149], s[18:19], v[89:90]
	s_delay_alu instid0(VALU_DEP_3) | instskip(SKIP_1) | instid1(VALU_DEP_4)
	v_add_f64_e32 v[136:137], v[154:155], v[136:137]
	v_mul_f64_e32 v[154:155], s[20:21], v[81:82]
	v_add_f64_e32 v[140:141], v[142:143], v[140:141]
	s_delay_alu instid0(VALU_DEP_2) | instskip(SKIP_4) | instid1(VALU_DEP_3)
	v_fma_f64 v[156:157], v[166:167], s[12:13], v[154:155]
	v_fma_f64 v[142:143], v[166:167], s[12:13], -v[154:155]
	v_mul_f64_e32 v[154:155], s[18:19], v[87:88]
	s_mov_b32 s19, 0x3fedeba7
	s_mov_b32 s18, s16
	v_add_f64_e32 v[134:135], v[156:157], v[134:135]
	v_mul_f64_e32 v[156:157], s[20:21], v[79:80]
	s_delay_alu instid0(VALU_DEP_4) | instskip(NEXT) | instid1(VALU_DEP_2)
	v_add_f64_e32 v[138:139], v[142:143], v[138:139]
	v_fma_f64 v[182:183], v[168:169], s[12:13], -v[156:157]
	v_fma_f64 v[142:143], v[168:169], s[12:13], v[156:157]
	v_mul_f64_e32 v[156:157], s[30:31], v[85:86]
	s_delay_alu instid0(VALU_DEP_3) | instskip(SKIP_1) | instid1(VALU_DEP_4)
	v_add_f64_e32 v[136:137], v[182:183], v[136:137]
	v_add_f64_e32 v[182:183], v[34:35], v[44:45]
	v_add_f64_e32 v[140:141], v[142:143], v[140:141]
	s_delay_alu instid0(VALU_DEP_2) | instskip(SKIP_1) | instid1(VALU_DEP_2)
	v_fma_f64 v[186:187], v[182:183], s[0:1], v[184:185]
	v_fma_f64 v[142:143], v[182:183], s[0:1], -v[184:185]
	v_add_f64_e32 v[134:135], v[186:187], v[134:135]
	v_add_f64_e32 v[186:187], v[73:74], v[32:33]
	s_delay_alu instid0(VALU_DEP_3) | instskip(NEXT) | instid1(VALU_DEP_2)
	v_add_f64_e32 v[138:139], v[142:143], v[138:139]
	v_fma_f64 v[142:143], v[186:187], s[0:1], v[188:189]
	v_fma_f64 v[190:191], v[186:187], s[0:1], -v[188:189]
	v_mul_f64_e32 v[188:189], s[16:17], v[36:37]
	s_delay_alu instid0(VALU_DEP_3) | instskip(SKIP_1) | instid1(VALU_DEP_4)
	v_add_f64_e32 v[142:143], v[142:143], v[140:141]
	v_fma_f64 v[140:141], v[192:193], s[10:11], -v[194:195]
	v_add_f64_e32 v[190:191], v[190:191], v[136:137]
	v_fma_f64 v[136:137], v[192:193], s[10:11], v[194:195]
	v_mul_f64_e32 v[194:195], s[16:17], v[87:88]
	s_delay_alu instid0(VALU_DEP_4)
	v_add_f64_e32 v[140:141], v[140:141], v[138:139]
	v_add_f64_e32 v[138:139], v[144:145], v[142:143]
	v_fma_f64 v[142:143], v[0:1], s[10:11], v[148:149]
	v_fma_f64 v[144:145], v[119:120], s[10:11], -v[154:155]
	v_fma_f64 v[148:149], v[0:1], s[10:11], -v[148:149]
	v_fma_f64 v[154:155], v[119:120], s[10:11], v[154:155]
	v_add_f64_e32 v[136:137], v[136:137], v[134:135]
	v_fma_f64 v[134:135], v[196:197], s[10:11], -v[198:199]
	v_mul_f64_e32 v[198:199], s[26:27], v[85:86]
	v_add_f64_e32 v[142:143], v[142:143], v[172:173]
	v_add_f64_e32 v[144:145], v[144:145], v[158:159]
	v_fma_f64 v[158:159], v[121:122], s[12:13], v[156:157]
	v_add_f64_e32 v[148:149], v[148:149], v[174:175]
	v_add_f64_e32 v[146:147], v[154:155], v[146:147]
	v_fma_f64 v[154:155], v[121:122], s[12:13], -v[156:157]
	v_add_f64_e32 v[134:135], v[134:135], v[190:191]
	v_mul_f64_e32 v[190:191], s[16:17], v[77:78]
	s_wait_alu 0xfffe
	v_mul_f64_e32 v[174:175], s[34:35], v[38:39]
	v_add_f64_e32 v[142:143], v[158:159], v[142:143]
	v_mul_f64_e32 v[158:159], s[30:31], v[83:84]
	v_add_f64_e32 v[148:149], v[154:155], v[148:149]
	s_delay_alu instid0(VALU_DEP_2) | instskip(SKIP_2) | instid1(VALU_DEP_3)
	v_fma_f64 v[170:171], v[164:165], s[12:13], -v[158:159]
	v_fma_f64 v[154:155], v[164:165], s[12:13], v[158:159]
	v_mul_f64_e32 v[158:159], s[36:37], v[89:90]
	v_add_f64_e32 v[144:145], v[170:171], v[144:145]
	v_mul_f64_e32 v[170:171], s[34:35], v[81:82]
	s_delay_alu instid0(VALU_DEP_4) | instskip(NEXT) | instid1(VALU_DEP_2)
	v_add_f64_e32 v[146:147], v[154:155], v[146:147]
	v_fma_f64 v[172:173], v[166:167], s[22:23], v[170:171]
	v_fma_f64 v[154:155], v[166:167], s[22:23], -v[170:171]
	v_mul_f64_e32 v[170:171], s[36:37], v[87:88]
	s_delay_alu instid0(VALU_DEP_3) | instskip(SKIP_1) | instid1(VALU_DEP_4)
	v_add_f64_e32 v[142:143], v[172:173], v[142:143]
	v_mul_f64_e32 v[172:173], s[34:35], v[79:80]
	v_add_f64_e32 v[148:149], v[154:155], v[148:149]
	s_delay_alu instid0(VALU_DEP_2) | instskip(SKIP_3) | instid1(VALU_DEP_4)
	v_fma_f64 v[184:185], v[168:169], s[22:23], -v[172:173]
	v_fma_f64 v[154:155], v[168:169], s[22:23], v[172:173]
	v_mul_f64_e32 v[172:173], s[28:29], v[79:80]
	v_mul_f64_e32 v[79:80], s[16:17], v[79:80]
	v_add_f64_e32 v[144:145], v[184:185], v[144:145]
	v_fma_f64 v[184:185], v[182:183], s[24:25], v[111:112]
	v_add_f64_e32 v[146:147], v[154:155], v[146:147]
	v_fma_f64 v[111:112], v[182:183], s[24:25], -v[111:112]
	v_fma_f64 v[154:155], v[121:122], s[24:25], v[101:102]
	v_fma_f64 v[101:102], v[121:122], s[24:25], -v[101:102]
	v_add_f64_e32 v[142:143], v[184:185], v[142:143]
	v_fma_f64 v[184:185], v[186:187], s[24:25], -v[109:110]
	v_fma_f64 v[109:110], v[186:187], s[24:25], v[109:110]
	v_add_f64_e32 v[111:112], v[111:112], v[148:149]
	v_fma_f64 v[148:149], v[196:197], s[0:1], v[190:191]
	s_delay_alu instid0(VALU_DEP_4) | instskip(NEXT) | instid1(VALU_DEP_4)
	v_add_f64_e32 v[184:185], v[184:185], v[144:145]
	v_add_f64_e32 v[109:110], v[109:110], v[146:147]
	v_fma_f64 v[146:147], v[192:193], s[0:1], -v[188:189]
	v_fma_f64 v[144:145], v[192:193], s[0:1], v[188:189]
	v_mul_f64_e32 v[188:189], s[20:21], v[77:78]
	v_mul_f64_e32 v[77:78], s[26:27], v[77:78]
	v_add_f64_e32 v[109:110], v[148:149], v[109:110]
	v_add_f64_e32 v[111:112], v[146:147], v[111:112]
	v_fma_f64 v[146:147], v[0:1], s[4:5], v[158:159]
	v_fma_f64 v[148:149], v[119:120], s[4:5], -v[170:171]
	v_add_f64_e32 v[144:145], v[144:145], v[142:143]
	v_fma_f64 v[142:143], v[196:197], s[0:1], -v[190:191]
	v_mul_f64_e32 v[190:191], s[16:17], v[89:90]
	v_fma_f64 v[158:159], v[0:1], s[4:5], -v[158:159]
	v_fma_f64 v[170:171], v[119:120], s[4:5], v[170:171]
	v_mul_f64_e32 v[89:90], s[30:31], v[89:90]
	v_add_f64_e32 v[146:147], v[146:147], v[176:177]
	v_add_f64_e32 v[148:149], v[148:149], v[160:161]
	v_mul_f64_e32 v[160:161], s[28:29], v[81:82]
	v_mul_f64_e32 v[176:177], s[34:35], v[26:27]
	v_add_f64_e32 v[142:143], v[142:143], v[184:185]
	v_mul_f64_e32 v[184:185], s[20:21], v[36:37]
	v_add_f64_e32 v[158:159], v[158:159], v[178:179]
	v_add_f64_e32 v[127:128], v[170:171], v[127:128]
	v_mul_f64_e32 v[81:82], s[16:17], v[81:82]
	v_add_f64_e32 v[146:147], v[154:155], v[146:147]
	v_fma_f64 v[154:155], v[164:165], s[24:25], -v[103:104]
	v_fma_f64 v[103:104], v[164:165], s[24:25], v[103:104]
	v_add_f64_e32 v[101:102], v[101:102], v[158:159]
	v_fma_f64 v[158:159], v[196:197], s[12:13], v[188:189]
	s_delay_alu instid0(VALU_DEP_4) | instskip(SKIP_3) | instid1(VALU_DEP_3)
	v_add_f64_e32 v[148:149], v[154:155], v[148:149]
	v_fma_f64 v[154:155], v[166:167], s[10:11], v[160:161]
	v_add_f64_e32 v[103:104], v[103:104], v[127:128]
	v_fma_f64 v[127:128], v[166:167], s[10:11], -v[160:161]
	v_add_f64_e32 v[146:147], v[154:155], v[146:147]
	v_fma_f64 v[154:155], v[168:169], s[10:11], -v[172:173]
	s_delay_alu instid0(VALU_DEP_3) | instskip(SKIP_1) | instid1(VALU_DEP_3)
	v_add_f64_e32 v[101:102], v[127:128], v[101:102]
	v_fma_f64 v[127:128], v[168:169], s[10:11], v[172:173]
	v_add_f64_e32 v[148:149], v[154:155], v[148:149]
	v_fma_f64 v[154:155], v[182:183], s[22:23], v[174:175]
	s_delay_alu instid0(VALU_DEP_3) | instskip(SKIP_1) | instid1(VALU_DEP_3)
	v_add_f64_e32 v[103:104], v[127:128], v[103:104]
	v_fma_f64 v[127:128], v[182:183], s[22:23], -v[174:175]
	v_add_f64_e32 v[146:147], v[154:155], v[146:147]
	v_fma_f64 v[154:155], v[186:187], s[22:23], -v[176:177]
	s_delay_alu instid0(VALU_DEP_3) | instskip(SKIP_1) | instid1(VALU_DEP_3)
	v_add_f64_e32 v[101:102], v[127:128], v[101:102]
	v_fma_f64 v[127:128], v[186:187], s[22:23], v[176:177]
	v_add_f64_e32 v[154:155], v[154:155], v[148:149]
	v_fma_f64 v[148:149], v[192:193], s[12:13], v[184:185]
	s_delay_alu instid0(VALU_DEP_3) | instskip(SKIP_1) | instid1(VALU_DEP_3)
	v_add_f64_e32 v[127:128], v[127:128], v[103:104]
	v_fma_f64 v[103:104], v[192:193], s[12:13], -v[184:185]
	v_add_f64_e32 v[148:149], v[148:149], v[146:147]
	v_fma_f64 v[146:147], v[196:197], s[12:13], -v[188:189]
	s_delay_alu instid0(VALU_DEP_3) | instskip(SKIP_2) | instid1(VALU_DEP_4)
	v_add_f64_e32 v[103:104], v[103:104], v[101:102]
	v_add_f64_e32 v[101:102], v[158:159], v[127:128]
	v_fma_f64 v[127:128], v[0:1], s[22:23], v[210:211]
	v_add_f64_e32 v[146:147], v[146:147], v[154:155]
	v_fma_f64 v[154:155], v[0:1], s[0:1], -v[190:191]
	s_delay_alu instid0(VALU_DEP_3) | instskip(NEXT) | instid1(VALU_DEP_2)
	v_add_f64_e32 v[125:126], v[127:128], v[125:126]
	v_add_f64_e32 v[150:151], v[154:155], v[150:151]
	v_fma_f64 v[154:155], v[119:120], s[0:1], v[194:195]
	s_delay_alu instid0(VALU_DEP_1) | instskip(SKIP_1) | instid1(VALU_DEP_1)
	v_add_f64_e32 v[152:153], v[154:155], v[152:153]
	v_fma_f64 v[154:155], v[121:122], s[22:23], -v[198:199]
	v_add_f64_e32 v[150:151], v[154:155], v[150:151]
	v_fma_f64 v[154:155], v[164:165], s[22:23], v[200:201]
	s_delay_alu instid0(VALU_DEP_1) | instskip(SKIP_1) | instid1(VALU_DEP_1)
	v_add_f64_e32 v[152:153], v[154:155], v[152:153]
	v_fma_f64 v[154:155], v[166:167], s[4:5], -v[202:203]
	;; [unrolled: 5-line block ×3, first 2 shown]
	v_add_f64_e32 v[150:151], v[154:155], v[150:151]
	v_fma_f64 v[154:155], v[186:187], s[10:11], v[208:209]
	s_delay_alu instid0(VALU_DEP_1) | instskip(SKIP_2) | instid1(VALU_DEP_2)
	v_add_f64_e32 v[154:155], v[154:155], v[152:153]
	v_fma_f64 v[152:153], v[192:193], s[24:25], -v[91:92]
	v_fma_f64 v[91:92], v[192:193], s[24:25], v[91:92]
	v_add_f64_e32 v[152:153], v[152:153], v[150:151]
	v_fma_f64 v[150:151], v[196:197], s[24:25], v[93:94]
	s_delay_alu instid0(VALU_DEP_1) | instskip(SKIP_1) | instid1(VALU_DEP_1)
	v_add_f64_e32 v[150:151], v[150:151], v[154:155]
	v_fma_f64 v[154:155], v[0:1], s[22:23], -v[210:211]
	v_add_f64_e32 v[154:155], v[154:155], v[162:163]
	v_mul_f64_e32 v[162:163], s[26:27], v[87:88]
	v_mul_f64_e32 v[87:88], s[30:31], v[87:88]
	s_delay_alu instid0(VALU_DEP_2) | instskip(SKIP_1) | instid1(VALU_DEP_2)
	v_fma_f64 v[156:157], v[119:120], s[22:23], v[162:163]
	v_fma_f64 v[127:128], v[119:120], s[22:23], -v[162:163]
	v_add_f64_e32 v[156:157], v[156:157], v[180:181]
	v_mul_f64_e32 v[180:181], s[18:19], v[85:86]
	s_delay_alu instid0(VALU_DEP_3) | instskip(SKIP_1) | instid1(VALU_DEP_3)
	v_add_f64_e32 v[123:124], v[127:128], v[123:124]
	v_mul_f64_e32 v[85:86], s[28:29], v[85:86]
	v_fma_f64 v[212:213], v[121:122], s[0:1], -v[180:181]
	v_fma_f64 v[127:128], v[121:122], s[0:1], v[180:181]
	s_delay_alu instid0(VALU_DEP_2) | instskip(SKIP_1) | instid1(VALU_DEP_3)
	v_add_f64_e32 v[154:155], v[212:213], v[154:155]
	v_mul_f64_e32 v[212:213], s[18:19], v[83:84]
	v_add_f64_e32 v[125:126], v[127:128], v[125:126]
	v_mul_f64_e32 v[83:84], s[28:29], v[83:84]
	s_delay_alu instid0(VALU_DEP_3) | instskip(SKIP_1) | instid1(VALU_DEP_2)
	v_fma_f64 v[214:215], v[164:165], s[0:1], v[212:213]
	v_fma_f64 v[127:128], v[164:165], s[0:1], -v[212:213]
	v_add_f64_e32 v[156:157], v[214:215], v[156:157]
	v_fma_f64 v[214:215], v[166:167], s[24:25], -v[97:98]
	s_delay_alu instid0(VALU_DEP_3) | instskip(SKIP_1) | instid1(VALU_DEP_3)
	v_add_f64_e32 v[123:124], v[127:128], v[123:124]
	v_fma_f64 v[97:98], v[166:167], s[24:25], v[97:98]
	v_add_f64_e32 v[154:155], v[214:215], v[154:155]
	v_fma_f64 v[214:215], v[168:169], s[24:25], v[99:100]
	v_fma_f64 v[99:100], v[168:169], s[24:25], -v[99:100]
	s_delay_alu instid0(VALU_DEP_4) | instskip(SKIP_1) | instid1(VALU_DEP_4)
	v_add_f64_e32 v[97:98], v[97:98], v[125:126]
	v_fma_f64 v[125:126], v[196:197], s[4:5], -v[222:223]
	v_add_f64_e32 v[156:157], v[214:215], v[156:157]
	v_mul_f64_e32 v[214:215], s[30:31], v[38:39]
	v_add_f64_e32 v[99:100], v[99:100], v[123:124]
	s_delay_alu instid0(VALU_DEP_2) | instskip(SKIP_1) | instid1(VALU_DEP_2)
	v_fma_f64 v[216:217], v[182:183], s[12:13], -v[214:215]
	v_fma_f64 v[123:124], v[182:183], s[12:13], v[214:215]
	v_add_f64_e32 v[154:155], v[216:217], v[154:155]
	v_mul_f64_e32 v[216:217], s[30:31], v[26:27]
	s_delay_alu instid0(VALU_DEP_3) | instskip(SKIP_1) | instid1(VALU_DEP_3)
	v_add_f64_e32 v[97:98], v[123:124], v[97:98]
	v_mul_f64_e32 v[26:27], s[14:15], v[26:27]
	v_fma_f64 v[123:124], v[186:187], s[12:13], -v[216:217]
	v_fma_f64 v[218:219], v[186:187], s[12:13], v[216:217]
	s_delay_alu instid0(VALU_DEP_2) | instskip(SKIP_1) | instid1(VALU_DEP_3)
	v_add_f64_e32 v[123:124], v[123:124], v[99:100]
	v_fma_f64 v[99:100], v[192:193], s[4:5], v[220:221]
	v_add_f64_e32 v[218:219], v[218:219], v[156:157]
	v_fma_f64 v[156:157], v[192:193], s[4:5], -v[220:221]
	s_delay_alu instid0(VALU_DEP_3) | instskip(SKIP_2) | instid1(VALU_DEP_4)
	v_add_f64_e32 v[99:100], v[99:100], v[97:98]
	v_add_f64_e32 v[97:98], v[125:126], v[123:124]
	v_fma_f64 v[123:124], v[0:1], s[0:1], v[190:191]
	v_add_f64_e32 v[156:157], v[156:157], v[154:155]
	v_fma_f64 v[154:155], v[196:197], s[4:5], v[222:223]
	s_delay_alu instid0(VALU_DEP_3) | instskip(SKIP_1) | instid1(VALU_DEP_3)
	v_add_f64_e32 v[117:118], v[123:124], v[117:118]
	v_fma_f64 v[123:124], v[119:120], s[0:1], -v[194:195]
	v_add_f64_e32 v[154:155], v[154:155], v[218:219]
	s_delay_alu instid0(VALU_DEP_2) | instskip(SKIP_1) | instid1(VALU_DEP_1)
	v_add_f64_e32 v[115:116], v[123:124], v[115:116]
	v_fma_f64 v[123:124], v[121:122], s[22:23], v[198:199]
	v_add_f64_e32 v[117:118], v[123:124], v[117:118]
	v_fma_f64 v[123:124], v[164:165], s[22:23], -v[200:201]
	s_delay_alu instid0(VALU_DEP_1) | instskip(SKIP_1) | instid1(VALU_DEP_1)
	v_add_f64_e32 v[115:116], v[123:124], v[115:116]
	v_fma_f64 v[123:124], v[166:167], s[4:5], v[202:203]
	v_add_f64_e32 v[117:118], v[123:124], v[117:118]
	v_fma_f64 v[123:124], v[168:169], s[4:5], -v[204:205]
	s_delay_alu instid0(VALU_DEP_1) | instskip(SKIP_1) | instid1(VALU_DEP_1)
	v_add_f64_e32 v[115:116], v[123:124], v[115:116]
	v_fma_f64 v[123:124], v[182:183], s[10:11], v[206:207]
	v_add_f64_e32 v[117:118], v[123:124], v[117:118]
	v_fma_f64 v[123:124], v[186:187], s[10:11], -v[208:209]
	s_delay_alu instid0(VALU_DEP_1) | instskip(SKIP_1) | instid1(VALU_DEP_4)
	v_add_f64_e32 v[115:116], v[123:124], v[115:116]
	v_fma_f64 v[123:124], v[196:197], s[24:25], -v[93:94]
	v_add_f64_e32 v[93:94], v[91:92], v[117:118]
	s_delay_alu instid0(VALU_DEP_2) | instskip(SKIP_2) | instid1(VALU_DEP_2)
	v_add_f64_e32 v[91:92], v[123:124], v[115:116]
	v_fma_f64 v[115:116], v[0:1], s[12:13], -v[89:90]
	v_fma_f64 v[0:1], v[0:1], s[12:13], v[89:90]
	v_add_f64_e32 v[113:114], v[115:116], v[113:114]
	v_fma_f64 v[115:116], v[119:120], s[12:13], v[87:88]
	s_delay_alu instid0(VALU_DEP_3) | instskip(NEXT) | instid1(VALU_DEP_2)
	v_add_f64_e32 v[0:1], v[0:1], v[105:106]
	v_add_f64_e32 v[2:3], v[115:116], v[2:3]
	v_fma_f64 v[115:116], v[121:122], s[10:11], -v[85:86]
	s_delay_alu instid0(VALU_DEP_1) | instskip(SKIP_1) | instid1(VALU_DEP_1)
	v_add_f64_e32 v[113:114], v[115:116], v[113:114]
	v_fma_f64 v[115:116], v[164:165], s[10:11], v[83:84]
	v_add_f64_e32 v[2:3], v[115:116], v[2:3]
	v_fma_f64 v[115:116], v[166:167], s[0:1], -v[81:82]
	s_delay_alu instid0(VALU_DEP_1) | instskip(SKIP_1) | instid1(VALU_DEP_1)
	v_add_f64_e32 v[113:114], v[115:116], v[113:114]
	v_fma_f64 v[115:116], v[168:169], s[0:1], v[79:80]
	v_add_f64_e32 v[2:3], v[115:116], v[2:3]
	v_mul_f64_e32 v[115:116], s[14:15], v[38:39]
	s_delay_alu instid0(VALU_DEP_1) | instskip(NEXT) | instid1(VALU_DEP_1)
	v_fma_f64 v[38:39], v[182:183], s[4:5], -v[115:116]
	v_add_f64_e32 v[38:39], v[38:39], v[113:114]
	v_fma_f64 v[113:114], v[186:187], s[4:5], v[26:27]
	s_delay_alu instid0(VALU_DEP_1) | instskip(SKIP_1) | instid1(VALU_DEP_1)
	v_add_f64_e32 v[2:3], v[113:114], v[2:3]
	v_mul_f64_e32 v[113:114], s[26:27], v[36:37]
	v_fma_f64 v[36:37], v[192:193], s[22:23], -v[113:114]
	s_delay_alu instid0(VALU_DEP_1) | instskip(SKIP_1) | instid1(VALU_DEP_1)
	v_add_f64_e32 v[38:39], v[36:37], v[38:39]
	v_fma_f64 v[36:37], v[196:197], s[22:23], v[77:78]
	v_add_f64_e32 v[36:37], v[36:37], v[2:3]
	v_add_f64_e32 v[2:3], v[95:96], v[75:76]
	s_delay_alu instid0(VALU_DEP_1) | instskip(SKIP_1) | instid1(VALU_DEP_2)
	v_add_f64_e32 v[2:3], v[2:3], v[14:15]
	v_fma_f64 v[14:15], v[168:169], s[0:1], -v[79:80]
	v_add_f64_e32 v[2:3], v[2:3], v[50:51]
	s_delay_alu instid0(VALU_DEP_1) | instskip(NEXT) | instid1(VALU_DEP_1)
	v_add_f64_e32 v[2:3], v[2:3], v[34:35]
	v_add_f64_e32 v[2:3], v[2:3], v[22:23]
	s_delay_alu instid0(VALU_DEP_1) | instskip(SKIP_2) | instid1(VALU_DEP_3)
	v_add_f64_e32 v[2:3], v[2:3], v[8:9]
	v_add_f64_e32 v[8:9], v[10:11], v[20:21]
	v_fma_f64 v[10:11], v[164:165], s[10:11], -v[83:84]
	v_add_f64_e32 v[2:3], v[2:3], v[44:45]
	s_delay_alu instid0(VALU_DEP_3) | instskip(NEXT) | instid1(VALU_DEP_2)
	v_add_f64_e32 v[8:9], v[8:9], v[32:33]
	v_add_f64_e32 v[2:3], v[2:3], v[18:19]
	s_delay_alu instid0(VALU_DEP_2) | instskip(NEXT) | instid1(VALU_DEP_2)
	v_add_f64_e32 v[8:9], v[8:9], v[16:17]
	v_add_f64_e32 v[2:3], v[2:3], v[40:41]
	s_delay_alu instid0(VALU_DEP_2) | instskip(SKIP_1) | instid1(VALU_DEP_3)
	v_add_f64_e32 v[8:9], v[8:9], v[12:13]
	v_fma_f64 v[12:13], v[166:167], s[0:1], v[81:82]
	v_add_f64_e32 v[2:3], v[2:3], v[30:31]
	s_delay_alu instid0(VALU_DEP_3) | instskip(NEXT) | instid1(VALU_DEP_2)
	v_add_f64_e32 v[8:9], v[8:9], v[28:29]
	v_add_f64_e32 v[6:7], v[2:3], v[6:7]
	v_fma_f64 v[2:3], v[119:120], s[12:13], -v[87:88]
	s_delay_alu instid0(VALU_DEP_3) | instskip(SKIP_1) | instid1(VALU_DEP_3)
	v_add_f64_e32 v[4:5], v[8:9], v[4:5]
	v_fma_f64 v[8:9], v[121:122], s[10:11], v[85:86]
	v_add_f64_e32 v[2:3], v[2:3], v[107:108]
	s_delay_alu instid0(VALU_DEP_2) | instskip(SKIP_1) | instid1(VALU_DEP_3)
	v_add_f64_e32 v[0:1], v[8:9], v[0:1]
	v_fma_f64 v[8:9], v[182:183], s[4:5], v[115:116]
	v_add_f64_e32 v[2:3], v[10:11], v[2:3]
	v_fma_f64 v[10:11], v[186:187], s[4:5], -v[26:27]
	s_delay_alu instid0(VALU_DEP_4) | instskip(SKIP_1) | instid1(VALU_DEP_4)
	v_add_f64_e32 v[0:1], v[12:13], v[0:1]
	v_fma_f64 v[12:13], v[192:193], s[22:23], v[113:114]
	v_add_f64_e32 v[2:3], v[14:15], v[2:3]
	v_fma_f64 v[14:15], v[196:197], s[22:23], -v[77:78]
	s_delay_alu instid0(VALU_DEP_4) | instskip(NEXT) | instid1(VALU_DEP_3)
	v_add_f64_e32 v[0:1], v[8:9], v[0:1]
	v_add_f64_e32 v[8:9], v[10:11], v[2:3]
	s_delay_alu instid0(VALU_DEP_2) | instskip(NEXT) | instid1(VALU_DEP_2)
	v_add_f64_e32 v[2:3], v[12:13], v[0:1]
	v_add_f64_e32 v[0:1], v[14:15], v[8:9]
	v_lshrrev_b32_e32 v8, 2, v54
	s_delay_alu instid0(VALU_DEP_1) | instskip(NEXT) | instid1(VALU_DEP_1)
	v_mul_u32_u24_e32 v8, 52, v8
	v_or_b32_e32 v8, v8, v68
	s_delay_alu instid0(VALU_DEP_1) | instskip(NEXT) | instid1(VALU_DEP_1)
	v_lshlrev_b32_e32 v8, 4, v8
	v_add3_u32 v8, 0, v8, v63
	ds_store_b128 v8, v[150:153] offset:128
	ds_store_b128 v8, v[154:157] offset:192
	;; [unrolled: 1-line block ×11, first 2 shown]
	ds_store_b128 v8, v[4:7]
	ds_store_b128 v8, v[0:3] offset:768
.LBB0_16:
	s_or_b32 exec_lo, exec_lo, s33
	v_subrev_nc_u32_e32 v0, 52, v54
	v_cmp_gt_u32_e64 s0, 52, v54
	v_dual_mov_b32 v2, 0 :: v_dual_and_b32 v5, 0xff, v66
	v_and_b32_e32 v6, 0xffff, v64
	v_and_b32_e32 v7, 0xffff, v60
	s_wait_alu 0xf1ff
	v_cndmask_b32_e64 v1, v0, v54, s0
	v_and_b32_e32 v0, 0xff, v56
	v_mul_lo_u16 v51, 0x4f, v5
	v_and_b32_e32 v5, 0xffff, v62
	v_mul_u32_u24_e32 v68, 0x4ec5, v6
	v_mul_u32_u24_e32 v6, 0x4ec5, v7
	v_mul_lo_u16 v0, 0x4f, v0
	v_lshrrev_b16 v70, 12, v51
	v_mul_u32_u24_e32 v5, 0x4ec5, v5
	v_lshrrev_b32_e32 v93, 20, v68
	v_lshrrev_b32_e32 v95, 20, v6
	v_lshrrev_b16 v0, 12, v0
	v_mul_lo_u16 v8, v70, 52
	v_lshrrev_b32_e32 v94, 20, v5
	v_lshlrev_b64_e32 v[3:4], 4, v[1:2]
	v_mul_lo_u16 v6, v93, 52
	v_mul_lo_u16 v7, v0, 52
	;; [unrolled: 1-line block ×3, first 2 shown]
	global_wb scope:SCOPE_SE
	s_wait_dscnt 0x0
	s_barrier_signal -1
	v_sub_nc_u16 v6, v64, v6
	v_sub_nc_u16 v5, v56, v7
	;; [unrolled: 1-line block ×3, first 2 shown]
	v_mul_lo_u16 v8, v94, 52
	v_add_co_u32 v3, s0, s8, v3
	s_delay_alu instid0(VALU_DEP_4) | instskip(NEXT) | instid1(VALU_DEP_4)
	v_and_b32_e32 v5, 0xff, v5
	v_and_b32_e32 v7, 0xff, v7
	s_delay_alu instid0(VALU_DEP_4)
	v_sub_nc_u16 v8, v62, v8
	s_wait_alu 0xf1ff
	v_add_co_ci_u32_e64 v4, s0, s9, v4, s0
	v_sub_nc_u16 v9, v60, v9
	v_lshlrev_b32_e32 v96, 4, v5
	v_and_b32_e32 v10, 0xffff, v6
	v_lshlrev_b32_e32 v97, 4, v7
	v_and_b32_e32 v11, 0xffff, v8
	s_barrier_wait -1
	global_inv scope:SCOPE_SE
	v_and_b32_e32 v15, 0xffff, v9
	global_load_b128 v[3:6], v[3:4], off offset:800
	v_lshlrev_b32_e32 v98, 4, v10
	global_load_b128 v[7:10], v96, s[8:9] offset:800
	v_lshlrev_b32_e32 v99, 4, v11
	global_load_b128 v[11:14], v97, s[8:9] offset:800
	v_lshlrev_b32_e32 v100, 4, v15
	s_clause 0x2
	global_load_b128 v[15:18], v98, s[8:9] offset:800
	global_load_b128 v[19:22], v99, s[8:9] offset:800
	;; [unrolled: 1-line block ×3, first 2 shown]
	ds_load_b128 v[27:30], v57 offset:7488
	ds_load_b128 v[31:34], v57 offset:8736
	ds_load_b128 v[35:38], v57 offset:9984
	ds_load_b128 v[39:42], v57 offset:11232
	ds_load_b128 v[43:46], v57 offset:12480
	ds_load_b128 v[47:50], v57 offset:13728
	v_cmp_lt_u32_e64 s0, 51, v54
	v_and_b32_e32 v70, 0xffff, v70
	s_mov_b32 s4, 0xe8584caa
	s_mov_b32 s5, 0xbfebb67a
	;; [unrolled: 1-line block ×3, first 2 shown]
	s_wait_alu 0xfffe
	s_mov_b32 s10, s4
	s_mov_b32 s1, exec_lo
	s_wait_loadcnt_dscnt 0x505
	v_mul_f64_e32 v[73:74], v[29:30], v[5:6]
	v_mul_f64_e32 v[5:6], v[27:28], v[5:6]
	s_wait_loadcnt_dscnt 0x404
	v_mul_f64_e32 v[75:76], v[33:34], v[9:10]
	v_mul_f64_e32 v[9:10], v[31:32], v[9:10]
	;; [unrolled: 3-line block ×6, first 2 shown]
	v_fma_f64 v[73:74], v[27:28], v[3:4], v[73:74]
	v_fma_f64 v[3:4], v[29:30], v[3:4], -v[5:6]
	v_fma_f64 v[75:76], v[31:32], v[7:8], v[75:76]
	v_fma_f64 v[85:86], v[33:34], v[7:8], -v[9:10]
	;; [unrolled: 2-line block ×6, first 2 shown]
	ds_load_b128 v[5:8], v61
	ds_load_b128 v[9:12], v131
	;; [unrolled: 1-line block ×6, first 2 shown]
	global_wb scope:SCOPE_SE
	s_wait_dscnt 0x0
	s_barrier_signal -1
	s_barrier_wait -1
	global_inv scope:SCOPE_SE
	v_add_f64_e64 v[29:30], v[5:6], -v[73:74]
	v_add_f64_e64 v[31:32], v[7:8], -v[3:4]
	;; [unrolled: 1-line block ×12, first 2 shown]
	v_cndmask_b32_e64 v4, 0, 0x680, s0
	v_lshlrev_b32_e32 v79, 4, v1
	v_subrev_nc_u32_e32 v3, 26, v54
	v_cmp_gt_u32_e64 s0, 26, v54
	s_delay_alu instid0(VALU_DEP_4)
	v_dual_mov_b32 v73, v2 :: v_dual_add_nc_u32 v78, 0, v4
	v_lshrrev_b16 v4, 13, v51
	v_lshrrev_b32_e32 v51, 21, v68
	s_wait_alu 0xf1ff
	v_cndmask_b32_e64 v3, v3, v56, s0
	v_lshlrev_b64_e32 v[49:50], 4, v[72:73]
	v_add3_u32 v68, v78, v79, v63
	v_and_b32_e32 v72, 0xffff, v0
	v_mul_lo_u16 v51, 0x68, v51
	v_lshlrev_b32_e32 v1, 1, v3
	v_mad_u32_u24 v73, 0x680, v93, 0
	v_add_co_u32 v0, s0, s8, v49
	v_mad_u32_u24 v49, 0x680, v72, 0
	v_mad_u32_u24 v82, 0x680, v95, 0
	v_sub_nc_u16 v51, v64, v51
	s_delay_alu instid0(VALU_DEP_3) | instskip(NEXT) | instid1(VALU_DEP_3)
	v_add3_u32 v49, v49, v96, v63
	v_add3_u32 v72, v82, v100, v63
	v_fma_f64 v[78:79], v[5:6], 2.0, -v[29:30]
	v_fma_f64 v[80:81], v[7:8], 2.0, -v[31:32]
	;; [unrolled: 1-line block ×12, first 2 shown]
	v_mul_lo_u16 v5, 0x68, v4
	v_lshlrev_b64_e32 v[26:27], 4, v[1:2]
	s_wait_alu 0xf1ff
	v_add_co_ci_u32_e64 v1, s0, s9, v50, s0
	v_mad_u32_u24 v50, 0x680, v70, 0
	v_sub_nc_u16 v5, v66, v5
	v_mad_u32_u24 v28, 0x680, v94, 0
	v_add_co_u32 v26, s0, s8, v26
	s_wait_alu 0xf1ff
	v_add_co_ci_u32_e64 v27, s0, s9, v27, s0
	v_and_b32_e32 v5, 0xff, v5
	v_add3_u32 v50, v50, v97, v63
	v_add3_u32 v70, v73, v98, v63
	;; [unrolled: 1-line block ×3, first 2 shown]
	v_cmp_lt_u32_e64 s0, 25, v54
	ds_store_b128 v68, v[78:81]
	ds_store_b128 v68, v[29:32] offset:832
	ds_store_b128 v49, v[6:9]
	ds_store_b128 v49, v[33:36] offset:832
	;; [unrolled: 2-line block ×6, first 2 shown]
	global_wb scope:SCOPE_SE
	s_wait_dscnt 0x0
	s_barrier_signal -1
	s_barrier_wait -1
	global_inv scope:SCOPE_SE
	s_clause 0x1
	global_load_b128 v[7:10], v[0:1], off offset:1632
	global_load_b128 v[11:14], v[0:1], off offset:1648
	v_and_b32_e32 v6, 0xffff, v51
	v_lshlrev_b32_e32 v28, 5, v5
	s_clause 0x1
	global_load_b128 v[15:18], v[26:27], off offset:1632
	global_load_b128 v[19:22], v[26:27], off offset:1648
	s_wait_alu 0xf1ff
	v_cndmask_b32_e64 v51, 0, 0x1380, s0
	v_dual_mov_b32 v70, v2 :: v_dual_lshlrev_b32 v35, 5, v6
	s_clause 0x3
	global_load_b128 v[23:26], v28, s[8:9] offset:1632
	global_load_b128 v[27:30], v28, s[8:9] offset:1648
	;; [unrolled: 1-line block ×4, first 2 shown]
	ds_load_b128 v[39:42], v132
	ds_load_b128 v[43:46], v57 offset:9984
	ds_load_b128 v[47:50], v133
	ds_load_b128 v[72:75], v57 offset:11232
	ds_load_b128 v[76:79], v57 offset:7488
	ds_load_b128 v[80:83], v57 offset:12480
	ds_load_b128 v[84:87], v57 offset:8736
	ds_load_b128 v[88:91], v57 offset:13728
	v_dual_mov_b32 v68, v2 :: v_dual_add_nc_u32 v51, 0, v51
	v_lshlrev_b64_e32 v[69:70], 4, v[69:70]
	v_lshlrev_b32_e32 v5, 4, v5
	v_lshlrev_b32_e32 v6, 4, v6
	s_delay_alu instid0(VALU_DEP_4)
	v_lshlrev_b64_e32 v[67:68], 4, v[67:68]
	s_wait_loadcnt_dscnt 0x707
	v_mul_f64_e32 v[92:93], v[41:42], v[9:10]
	v_mul_f64_e32 v[9:10], v[39:40], v[9:10]
	s_wait_loadcnt_dscnt 0x606
	v_mul_f64_e32 v[94:95], v[45:46], v[13:14]
	v_mul_f64_e32 v[13:14], v[43:44], v[13:14]
	;; [unrolled: 3-line block ×8, first 2 shown]
	v_fma_f64 v[39:40], v[39:40], v[7:8], v[92:93]
	v_fma_f64 v[41:42], v[41:42], v[7:8], -v[9:10]
	v_fma_f64 v[43:44], v[43:44], v[11:12], v[94:95]
	v_fma_f64 v[45:46], v[45:46], v[11:12], -v[13:14]
	;; [unrolled: 2-line block ×8, first 2 shown]
	ds_load_b128 v[7:10], v61
	ds_load_b128 v[11:14], v131
	;; [unrolled: 1-line block ×4, first 2 shown]
	global_wb scope:SCOPE_SE
	s_wait_dscnt 0x0
	s_barrier_signal -1
	s_barrier_wait -1
	global_inv scope:SCOPE_SE
	v_add_f64_e32 v[92:93], v[7:8], v[39:40]
	v_add_f64_e32 v[37:38], v[39:40], v[43:44]
	;; [unrolled: 1-line block ×3, first 2 shown]
	v_add_f64_e64 v[94:95], v[41:42], -v[45:46]
	v_add_f64_e32 v[41:42], v[9:10], v[41:42]
	v_add_f64_e32 v[80:81], v[47:48], v[72:73]
	;; [unrolled: 1-line block ×4, first 2 shown]
	v_add_f64_e64 v[39:40], v[39:40], -v[43:44]
	v_add_f64_e32 v[84:85], v[76:77], v[25:26]
	v_add_f64_e32 v[86:87], v[23:24], v[27:28]
	;; [unrolled: 1-line block ×8, first 2 shown]
	v_add_f64_e64 v[49:50], v[49:50], -v[74:75]
	v_add_f64_e64 v[47:48], v[47:48], -v[72:73]
	v_add_f64_e32 v[106:107], v[21:22], v[31:32]
	v_add_f64_e64 v[108:109], v[23:24], -v[27:28]
	v_add_f64_e64 v[76:77], v[76:77], -v[25:26]
	;; [unrolled: 1-line block ×4, first 2 shown]
	v_fma_f64 v[37:38], v[37:38], -0.5, v[7:8]
	v_fma_f64 v[78:79], v[78:79], -0.5, v[9:10]
	v_add_f64_e32 v[7:8], v[92:93], v[43:44]
	v_add_f64_e32 v[9:10], v[41:42], v[45:46]
	v_fma_f64 v[80:81], v[80:81], -0.5, v[11:12]
	v_fma_f64 v[82:83], v[82:83], -0.5, v[13:14]
	;; [unrolled: 1-line block ×4, first 2 shown]
	v_add_f64_e32 v[15:16], v[100:101], v[25:26]
	v_add_f64_e32 v[17:18], v[102:103], v[27:28]
	v_fma_f64 v[88:89], v[88:89], -0.5, v[19:20]
	v_fma_f64 v[90:91], v[90:91], -0.5, v[21:22]
	v_add_f64_e32 v[11:12], v[96:97], v[72:73]
	v_add_f64_e32 v[13:14], v[98:99], v[74:75]
	;; [unrolled: 1-line block ×3, first 2 shown]
	v_mov_b32_e32 v72, v2
	v_add_f64_e32 v[21:22], v[106:107], v[35:36]
	v_fma_f64 v[23:24], v[94:95], s[4:5], v[37:38]
	s_wait_alu 0xfffe
	v_fma_f64 v[25:26], v[39:40], s[10:11], v[78:79]
	v_fma_f64 v[27:28], v[94:95], s[10:11], v[37:38]
	;; [unrolled: 1-line block ×15, first 2 shown]
	v_lshlrev_b32_e32 v77, 4, v3
	v_and_b32_e32 v78, 0xffff, v4
	v_lshlrev_b64_e32 v[3:4], 4, v[71:72]
	s_delay_alu instid0(VALU_DEP_3) | instskip(NEXT) | instid1(VALU_DEP_3)
	v_add3_u32 v51, v51, v77, v63
	v_mad_u32_u24 v77, 0x1380, v78, 0
	s_delay_alu instid0(VALU_DEP_3) | instskip(SKIP_1) | instid1(VALU_DEP_4)
	v_add_co_u32 v71, s0, s8, v3
	s_wait_alu 0xf1ff
	v_add_co_ci_u32_e64 v72, s0, s9, v4, s0
	s_delay_alu instid0(VALU_DEP_3)
	v_add3_u32 v3, v77, v5, v63
	v_add3_u32 v4, 0, v6, v63
	ds_store_b128 v57, v[7:10]
	ds_store_b128 v57, v[23:26] offset:1664
	ds_store_b128 v57, v[27:30] offset:3328
	ds_store_b128 v51, v[11:14]
	ds_store_b128 v51, v[31:34] offset:1664
	ds_store_b128 v51, v[35:38] offset:3328
	;; [unrolled: 3-line block ×3, first 2 shown]
	ds_store_b128 v4, v[19:22] offset:9984
	ds_store_b128 v4, v[47:50] offset:11648
	;; [unrolled: 1-line block ×3, first 2 shown]
	global_wb scope:SCOPE_SE
	s_wait_dscnt 0x0
	s_barrier_signal -1
	s_barrier_wait -1
	global_inv scope:SCOPE_SE
	s_clause 0x1
	global_load_b128 v[3:6], v[0:1], off offset:4976
	global_load_b128 v[7:10], v[0:1], off offset:4960
	v_add_co_u32 v0, s0, s8, v69
	s_wait_alu 0xf1ff
	v_add_co_ci_u32_e64 v1, s0, s9, v70, s0
	s_clause 0x1
	global_load_b128 v[11:14], v[71:72], off offset:4976
	global_load_b128 v[15:18], v[71:72], off offset:4960
	v_add_co_u32 v31, s0, s8, v67
	s_wait_alu 0xf1ff
	v_add_co_ci_u32_e64 v32, s0, s9, v68, s0
	s_clause 0x3
	global_load_b128 v[19:22], v[0:1], off offset:4960
	global_load_b128 v[23:26], v[0:1], off offset:4976
	;; [unrolled: 1-line block ×4, first 2 shown]
	ds_load_b128 v[35:38], v132
	ds_load_b128 v[39:42], v57 offset:9984
	ds_load_b128 v[43:46], v133
	ds_load_b128 v[47:50], v57 offset:11232
	ds_load_b128 v[67:70], v57 offset:7488
	;; [unrolled: 1-line block ×5, first 2 shown]
	s_wait_loadcnt_dscnt 0x706
	v_mul_f64_e32 v[83:84], v[41:42], v[5:6]
	s_wait_loadcnt 0x6
	v_mul_f64_e32 v[0:1], v[37:38], v[9:10]
	v_mul_f64_e32 v[9:10], v[35:36], v[9:10]
	;; [unrolled: 1-line block ×3, first 2 shown]
	s_wait_loadcnt_dscnt 0x504
	v_mul_f64_e32 v[87:88], v[49:50], v[13:14]
	s_wait_loadcnt 0x4
	v_mul_f64_e32 v[85:86], v[45:46], v[17:18]
	v_mul_f64_e32 v[17:18], v[43:44], v[17:18]
	;; [unrolled: 1-line block ×3, first 2 shown]
	s_wait_loadcnt_dscnt 0x303
	v_mul_f64_e32 v[89:90], v[69:70], v[21:22]
	v_mul_f64_e32 v[21:22], v[67:68], v[21:22]
	s_wait_loadcnt_dscnt 0x202
	v_mul_f64_e32 v[91:92], v[73:74], v[25:26]
	v_mul_f64_e32 v[25:26], v[71:72], v[25:26]
	s_wait_loadcnt_dscnt 0x101
	v_mul_f64_e32 v[93:94], v[77:78], v[29:30]
	v_mul_f64_e32 v[29:30], v[75:76], v[29:30]
	s_wait_loadcnt_dscnt 0x0
	v_mul_f64_e32 v[95:96], v[81:82], v[33:34]
	v_mul_f64_e32 v[33:34], v[79:80], v[33:34]
	v_fma_f64 v[0:1], v[35:36], v[7:8], v[0:1]
	v_fma_f64 v[35:36], v[37:38], v[7:8], -v[9:10]
	v_fma_f64 v[37:38], v[39:40], v[3:4], v[83:84]
	v_fma_f64 v[39:40], v[41:42], v[3:4], -v[5:6]
	ds_load_b128 v[3:6], v61
	ds_load_b128 v[7:10], v131
	v_fma_f64 v[41:42], v[43:44], v[15:16], v[85:86]
	v_fma_f64 v[43:44], v[45:46], v[15:16], -v[17:18]
	v_fma_f64 v[45:46], v[47:48], v[11:12], v[87:88]
	v_fma_f64 v[47:48], v[49:50], v[11:12], -v[13:14]
	;; [unrolled: 2-line block ×6, first 2 shown]
	ds_load_b128 v[11:14], v130
	ds_load_b128 v[15:18], v65
	global_wb scope:SCOPE_SE
	s_wait_dscnt 0x0
	s_barrier_signal -1
	s_barrier_wait -1
	global_inv scope:SCOPE_SE
	v_add_f64_e32 v[81:82], v[3:4], v[0:1]
	v_add_f64_e32 v[33:34], v[0:1], v[37:38]
	;; [unrolled: 1-line block ×3, first 2 shown]
	v_add_f64_e64 v[83:84], v[35:36], -v[39:40]
	v_add_f64_e32 v[35:36], v[5:6], v[35:36]
	v_add_f64_e64 v[0:1], v[0:1], -v[37:38]
	v_add_f64_e32 v[85:86], v[7:8], v[41:42]
	v_add_f64_e32 v[69:70], v[41:42], v[45:46]
	;; [unrolled: 1-line block ×11, first 2 shown]
	v_add_f64_e64 v[43:44], v[43:44], -v[47:48]
	v_add_f64_e64 v[41:42], v[41:42], -v[45:46]
	v_add_f64_e32 v[95:96], v[17:18], v[27:28]
	v_add_f64_e64 v[97:98], v[19:20], -v[23:24]
	v_add_f64_e64 v[49:50], v[49:50], -v[21:22]
	;; [unrolled: 1-line block ×4, first 2 shown]
	v_fma_f64 v[33:34], v[33:34], -0.5, v[3:4]
	v_fma_f64 v[67:68], v[67:68], -0.5, v[5:6]
	v_add_f64_e32 v[3:4], v[81:82], v[37:38]
	v_add_f64_e32 v[5:6], v[35:36], v[39:40]
	v_fma_f64 v[69:70], v[69:70], -0.5, v[7:8]
	v_fma_f64 v[71:72], v[71:72], -0.5, v[9:10]
	v_add_f64_e32 v[7:8], v[85:86], v[45:46]
	v_fma_f64 v[73:74], v[73:74], -0.5, v[11:12]
	v_fma_f64 v[75:76], v[75:76], -0.5, v[13:14]
	v_add_f64_e32 v[11:12], v[89:90], v[21:22]
	v_add_f64_e32 v[13:14], v[91:92], v[23:24]
	v_fma_f64 v[77:78], v[77:78], -0.5, v[15:16]
	v_fma_f64 v[79:80], v[79:80], -0.5, v[17:18]
	v_add_f64_e32 v[9:10], v[87:88], v[47:48]
	v_add_f64_e32 v[15:16], v[93:94], v[29:30]
	;; [unrolled: 1-line block ×3, first 2 shown]
	v_fma_f64 v[19:20], v[83:84], s[4:5], v[33:34]
	v_fma_f64 v[21:22], v[0:1], s[10:11], v[67:68]
	v_fma_f64 v[23:24], v[83:84], s[10:11], v[33:34]
	v_fma_f64 v[25:26], v[0:1], s[4:5], v[67:68]
                                        ; implicit-def: $vgpr0_vgpr1
	v_fma_f64 v[27:28], v[43:44], s[4:5], v[69:70]
	v_fma_f64 v[29:30], v[41:42], s[10:11], v[71:72]
	;; [unrolled: 1-line block ×12, first 2 shown]
	ds_store_b128 v57, v[3:6]
	ds_store_b128 v57, v[19:22] offset:4992
	ds_store_b128 v57, v[23:26] offset:9984
	ds_store_b128 v131, v[7:10]
	ds_store_b128 v131, v[27:30] offset:4992
	ds_store_b128 v131, v[31:34] offset:9984
	;; [unrolled: 3-line block ×4, first 2 shown]
	global_wb scope:SCOPE_SE
	s_wait_dscnt 0x0
	s_barrier_signal -1
	s_barrier_wait -1
	global_inv scope:SCOPE_SE
	ds_load_b128 v[4:7], v61
	v_sub_nc_u32_e32 v12, v129, v55
                                        ; implicit-def: $vgpr8_vgpr9
                                        ; implicit-def: $vgpr10_vgpr11
	v_cmpx_ne_u32_e32 0, v54
	s_xor_b32 s1, exec_lo, s1
	s_cbranch_execz .LBB0_18
; %bb.17:
	v_mov_b32_e32 v55, v2
	s_delay_alu instid0(VALU_DEP_1) | instskip(NEXT) | instid1(VALU_DEP_1)
	v_lshlrev_b64_e32 v[0:1], 4, v[54:55]
	v_add_co_u32 v0, s0, s8, v0
	s_wait_alu 0xf1ff
	s_delay_alu instid0(VALU_DEP_2)
	v_add_co_ci_u32_e64 v1, s0, s9, v1, s0
	global_load_b128 v[13:16], v[0:1], off offset:14944
	ds_load_b128 v[0:3], v12 offset:14976
	s_wait_dscnt 0x0
	v_add_f64_e64 v[8:9], v[4:5], -v[0:1]
	v_add_f64_e32 v[10:11], v[6:7], v[2:3]
	v_add_f64_e64 v[2:3], v[6:7], -v[2:3]
	v_add_f64_e32 v[0:1], v[4:5], v[0:1]
	s_delay_alu instid0(VALU_DEP_4) | instskip(NEXT) | instid1(VALU_DEP_4)
	v_mul_f64_e32 v[6:7], 0.5, v[8:9]
	v_mul_f64_e32 v[4:5], 0.5, v[10:11]
	s_delay_alu instid0(VALU_DEP_4) | instskip(SKIP_1) | instid1(VALU_DEP_3)
	v_mul_f64_e32 v[2:3], 0.5, v[2:3]
	s_wait_loadcnt 0x0
	v_mul_f64_e32 v[8:9], v[6:7], v[15:16]
	s_delay_alu instid0(VALU_DEP_2) | instskip(SKIP_1) | instid1(VALU_DEP_3)
	v_fma_f64 v[10:11], v[4:5], v[15:16], v[2:3]
	v_fma_f64 v[2:3], v[4:5], v[15:16], -v[2:3]
	v_fma_f64 v[17:18], v[0:1], 0.5, v[8:9]
	v_fma_f64 v[0:1], v[0:1], 0.5, -v[8:9]
	s_delay_alu instid0(VALU_DEP_4) | instskip(NEXT) | instid1(VALU_DEP_4)
	v_fma_f64 v[10:11], -v[13:14], v[6:7], v[10:11]
	v_fma_f64 v[2:3], -v[13:14], v[6:7], v[2:3]
	s_delay_alu instid0(VALU_DEP_4) | instskip(NEXT) | instid1(VALU_DEP_4)
	v_fma_f64 v[8:9], v[4:5], v[13:14], v[17:18]
	v_fma_f64 v[0:1], -v[4:5], v[13:14], v[0:1]
                                        ; implicit-def: $vgpr4_vgpr5
.LBB0_18:
	s_wait_alu 0xfffe
	s_and_not1_saveexec_b32 s0, s1
	s_cbranch_execz .LBB0_20
; %bb.19:
	s_wait_dscnt 0x0
	v_add_f64_e32 v[8:9], v[4:5], v[6:7]
	v_add_f64_e64 v[0:1], v[4:5], -v[6:7]
	ds_load_b64 v[4:5], v129 offset:7496
	v_mov_b32_e32 v10, 0
	v_mov_b32_e32 v11, 0
	s_delay_alu instid0(VALU_DEP_1)
	v_dual_mov_b32 v2, v10 :: v_dual_mov_b32 v3, v11
	s_wait_dscnt 0x0
	v_xor_b32_e32 v5, 0x80000000, v5
	ds_store_b64 v129, v[4:5] offset:7496
.LBB0_20:
	s_wait_alu 0xfffe
	s_or_b32 exec_lo, exec_lo, s0
	v_mov_b32_e32 v57, 0
	v_lshl_add_u32 v21, v56, 4, v129
	v_lshl_add_u32 v22, v66, 4, v129
	s_wait_dscnt 0x0
	s_delay_alu instid0(VALU_DEP_3) | instskip(SKIP_3) | instid1(VALU_DEP_3)
	v_lshlrev_b64_e32 v[4:5], 4, v[56:57]
	v_mov_b32_e32 v67, v57
	v_mov_b32_e32 v65, v57
	;; [unrolled: 1-line block ×3, first 2 shown]
	v_lshlrev_b64_e32 v[13:14], 4, v[66:67]
	v_add_co_u32 v4, s0, s8, v4
	s_wait_alu 0xf1ff
	v_add_co_ci_u32_e64 v5, s0, s9, v5, s0
	s_delay_alu instid0(VALU_DEP_3)
	v_add_co_u32 v13, s0, s8, v13
	global_load_b128 v[4:7], v[4:5], off offset:14944
	s_wait_alu 0xf1ff
	v_add_co_ci_u32_e64 v14, s0, s9, v14, s0
	global_load_b128 v[13:16], v[13:14], off offset:14944
	ds_store_2addr_b64 v61, v[8:9], v[10:11] offset1:1
	ds_store_b128 v12, v[0:3] offset:14976
	ds_load_b128 v[0:3], v21
	ds_load_b128 v[8:11], v12 offset:13728
	v_mov_b32_e32 v61, v57
	s_wait_dscnt 0x0
	v_add_f64_e64 v[17:18], v[0:1], -v[8:9]
	v_add_f64_e32 v[19:20], v[2:3], v[10:11]
	v_add_f64_e64 v[2:3], v[2:3], -v[10:11]
	v_add_f64_e32 v[0:1], v[0:1], v[8:9]
	s_delay_alu instid0(VALU_DEP_4) | instskip(NEXT) | instid1(VALU_DEP_4)
	v_mul_f64_e32 v[10:11], 0.5, v[17:18]
	v_mul_f64_e32 v[17:18], 0.5, v[19:20]
	s_delay_alu instid0(VALU_DEP_4) | instskip(SKIP_1) | instid1(VALU_DEP_3)
	v_mul_f64_e32 v[2:3], 0.5, v[2:3]
	s_wait_loadcnt 0x1
	v_mul_f64_e32 v[8:9], v[10:11], v[6:7]
	s_delay_alu instid0(VALU_DEP_2) | instskip(SKIP_1) | instid1(VALU_DEP_3)
	v_fma_f64 v[19:20], v[17:18], v[6:7], v[2:3]
	v_fma_f64 v[2:3], v[17:18], v[6:7], -v[2:3]
	v_fma_f64 v[6:7], v[0:1], 0.5, v[8:9]
	v_fma_f64 v[0:1], v[0:1], 0.5, -v[8:9]
	s_delay_alu instid0(VALU_DEP_4) | instskip(NEXT) | instid1(VALU_DEP_4)
	v_fma_f64 v[8:9], -v[4:5], v[10:11], v[19:20]
	v_fma_f64 v[2:3], -v[4:5], v[10:11], v[2:3]
	s_delay_alu instid0(VALU_DEP_4) | instskip(NEXT) | instid1(VALU_DEP_4)
	v_fma_f64 v[10:11], v[17:18], v[4:5], v[6:7]
	v_fma_f64 v[0:1], -v[17:18], v[4:5], v[0:1]
	v_lshlrev_b64_e32 v[4:5], 4, v[64:65]
	s_delay_alu instid0(VALU_DEP_1) | instskip(SKIP_1) | instid1(VALU_DEP_2)
	v_add_co_u32 v4, s0, s8, v4
	s_wait_alu 0xf1ff
	v_add_co_ci_u32_e64 v5, s0, s9, v5, s0
	global_load_b128 v[4:7], v[4:5], off offset:14944
	ds_store_2addr_b64 v21, v[10:11], v[8:9] offset1:1
	ds_store_b128 v12, v[0:3] offset:13728
	ds_load_b128 v[0:3], v22
	ds_load_b128 v[8:11], v12 offset:12480
	v_lshl_add_u32 v21, v64, 4, v129
	s_wait_dscnt 0x0
	v_add_f64_e64 v[17:18], v[0:1], -v[8:9]
	v_add_f64_e32 v[19:20], v[2:3], v[10:11]
	v_add_f64_e64 v[2:3], v[2:3], -v[10:11]
	v_add_f64_e32 v[0:1], v[0:1], v[8:9]
	s_delay_alu instid0(VALU_DEP_4) | instskip(NEXT) | instid1(VALU_DEP_4)
	v_mul_f64_e32 v[10:11], 0.5, v[17:18]
	v_mul_f64_e32 v[17:18], 0.5, v[19:20]
	s_delay_alu instid0(VALU_DEP_4) | instskip(SKIP_1) | instid1(VALU_DEP_3)
	v_mul_f64_e32 v[2:3], 0.5, v[2:3]
	s_wait_loadcnt 0x1
	v_mul_f64_e32 v[8:9], v[10:11], v[15:16]
	s_delay_alu instid0(VALU_DEP_2) | instskip(SKIP_1) | instid1(VALU_DEP_3)
	v_fma_f64 v[19:20], v[17:18], v[15:16], v[2:3]
	v_fma_f64 v[2:3], v[17:18], v[15:16], -v[2:3]
	v_fma_f64 v[15:16], v[0:1], 0.5, v[8:9]
	v_fma_f64 v[0:1], v[0:1], 0.5, -v[8:9]
	s_delay_alu instid0(VALU_DEP_4) | instskip(NEXT) | instid1(VALU_DEP_4)
	v_fma_f64 v[19:20], -v[13:14], v[10:11], v[19:20]
	v_fma_f64 v[2:3], -v[13:14], v[10:11], v[2:3]
	v_lshlrev_b64_e32 v[8:9], 4, v[62:63]
	s_delay_alu instid0(VALU_DEP_1) | instskip(SKIP_1) | instid1(VALU_DEP_2)
	v_add_co_u32 v8, s0, s8, v8
	s_wait_alu 0xf1ff
	v_add_co_ci_u32_e64 v9, s0, s9, v9, s0
	global_load_b128 v[8:11], v[8:9], off offset:14944
	v_fma_f64 v[15:16], v[17:18], v[13:14], v[15:16]
	v_fma_f64 v[0:1], -v[17:18], v[13:14], v[0:1]
	ds_store_2addr_b64 v22, v[15:16], v[19:20] offset1:1
	ds_store_b128 v12, v[0:3] offset:12480
	ds_load_b128 v[0:3], v21
	ds_load_b128 v[13:16], v12 offset:11232
	v_lshl_add_u32 v22, v62, 4, v129
	s_wait_dscnt 0x0
	v_add_f64_e64 v[17:18], v[0:1], -v[13:14]
	v_add_f64_e32 v[19:20], v[2:3], v[15:16]
	v_add_f64_e64 v[2:3], v[2:3], -v[15:16]
	v_add_f64_e32 v[0:1], v[0:1], v[13:14]
	s_delay_alu instid0(VALU_DEP_4) | instskip(NEXT) | instid1(VALU_DEP_4)
	v_mul_f64_e32 v[15:16], 0.5, v[17:18]
	v_mul_f64_e32 v[17:18], 0.5, v[19:20]
	s_delay_alu instid0(VALU_DEP_4) | instskip(SKIP_1) | instid1(VALU_DEP_3)
	v_mul_f64_e32 v[2:3], 0.5, v[2:3]
	s_wait_loadcnt 0x1
	v_mul_f64_e32 v[13:14], v[15:16], v[6:7]
	s_delay_alu instid0(VALU_DEP_2) | instskip(SKIP_1) | instid1(VALU_DEP_3)
	v_fma_f64 v[19:20], v[17:18], v[6:7], v[2:3]
	v_fma_f64 v[2:3], v[17:18], v[6:7], -v[2:3]
	v_fma_f64 v[6:7], v[0:1], 0.5, v[13:14]
	v_fma_f64 v[0:1], v[0:1], 0.5, -v[13:14]
	s_delay_alu instid0(VALU_DEP_4) | instskip(NEXT) | instid1(VALU_DEP_4)
	v_fma_f64 v[13:14], -v[4:5], v[15:16], v[19:20]
	v_fma_f64 v[2:3], -v[4:5], v[15:16], v[2:3]
	s_delay_alu instid0(VALU_DEP_4) | instskip(NEXT) | instid1(VALU_DEP_4)
	v_fma_f64 v[15:16], v[17:18], v[4:5], v[6:7]
	v_fma_f64 v[0:1], -v[17:18], v[4:5], v[0:1]
	v_lshlrev_b64_e32 v[4:5], 4, v[60:61]
	s_delay_alu instid0(VALU_DEP_1) | instskip(SKIP_1) | instid1(VALU_DEP_2)
	v_add_co_u32 v4, s0, s8, v4
	s_wait_alu 0xf1ff
	v_add_co_ci_u32_e64 v5, s0, s9, v5, s0
	global_load_b128 v[4:7], v[4:5], off offset:14944
	ds_store_2addr_b64 v21, v[15:16], v[13:14] offset1:1
	ds_store_b128 v12, v[0:3] offset:11232
	ds_load_b128 v[0:3], v22
	ds_load_b128 v[13:16], v12 offset:9984
	s_wait_dscnt 0x0
	v_add_f64_e64 v[17:18], v[0:1], -v[13:14]
	v_add_f64_e32 v[19:20], v[2:3], v[15:16]
	v_add_f64_e64 v[2:3], v[2:3], -v[15:16]
	v_add_f64_e32 v[0:1], v[0:1], v[13:14]
	s_delay_alu instid0(VALU_DEP_4) | instskip(NEXT) | instid1(VALU_DEP_4)
	v_mul_f64_e32 v[15:16], 0.5, v[17:18]
	v_mul_f64_e32 v[17:18], 0.5, v[19:20]
	s_delay_alu instid0(VALU_DEP_4) | instskip(SKIP_1) | instid1(VALU_DEP_3)
	v_mul_f64_e32 v[2:3], 0.5, v[2:3]
	s_wait_loadcnt 0x1
	v_mul_f64_e32 v[13:14], v[15:16], v[10:11]
	s_delay_alu instid0(VALU_DEP_2) | instskip(SKIP_1) | instid1(VALU_DEP_3)
	v_fma_f64 v[19:20], v[17:18], v[10:11], v[2:3]
	v_fma_f64 v[2:3], v[17:18], v[10:11], -v[2:3]
	v_fma_f64 v[10:11], v[0:1], 0.5, v[13:14]
	v_fma_f64 v[0:1], v[0:1], 0.5, -v[13:14]
	s_delay_alu instid0(VALU_DEP_4) | instskip(NEXT) | instid1(VALU_DEP_4)
	v_fma_f64 v[13:14], -v[8:9], v[15:16], v[19:20]
	v_fma_f64 v[2:3], -v[8:9], v[15:16], v[2:3]
	s_delay_alu instid0(VALU_DEP_4) | instskip(NEXT) | instid1(VALU_DEP_4)
	v_fma_f64 v[10:11], v[17:18], v[8:9], v[10:11]
	v_fma_f64 v[0:1], -v[17:18], v[8:9], v[0:1]
	v_lshl_add_u32 v17, v60, 4, v129
	ds_store_2addr_b64 v22, v[10:11], v[13:14] offset1:1
	ds_store_b128 v12, v[0:3] offset:9984
	ds_load_b128 v[0:3], v17
	ds_load_b128 v[8:11], v12 offset:8736
	s_wait_dscnt 0x0
	v_add_f64_e64 v[13:14], v[0:1], -v[8:9]
	v_add_f64_e32 v[15:16], v[2:3], v[10:11]
	v_add_f64_e64 v[2:3], v[2:3], -v[10:11]
	v_add_f64_e32 v[0:1], v[0:1], v[8:9]
	s_delay_alu instid0(VALU_DEP_4) | instskip(NEXT) | instid1(VALU_DEP_4)
	v_mul_f64_e32 v[10:11], 0.5, v[13:14]
	v_mul_f64_e32 v[13:14], 0.5, v[15:16]
	s_delay_alu instid0(VALU_DEP_4) | instskip(SKIP_1) | instid1(VALU_DEP_3)
	v_mul_f64_e32 v[2:3], 0.5, v[2:3]
	s_wait_loadcnt 0x0
	v_mul_f64_e32 v[8:9], v[10:11], v[6:7]
	s_delay_alu instid0(VALU_DEP_2) | instskip(SKIP_1) | instid1(VALU_DEP_3)
	v_fma_f64 v[15:16], v[13:14], v[6:7], v[2:3]
	v_fma_f64 v[2:3], v[13:14], v[6:7], -v[2:3]
	v_fma_f64 v[6:7], v[0:1], 0.5, v[8:9]
	v_fma_f64 v[0:1], v[0:1], 0.5, -v[8:9]
	s_delay_alu instid0(VALU_DEP_4) | instskip(NEXT) | instid1(VALU_DEP_4)
	v_fma_f64 v[8:9], -v[4:5], v[10:11], v[15:16]
	v_fma_f64 v[2:3], -v[4:5], v[10:11], v[2:3]
	s_delay_alu instid0(VALU_DEP_4) | instskip(NEXT) | instid1(VALU_DEP_4)
	v_fma_f64 v[6:7], v[13:14], v[4:5], v[6:7]
	v_fma_f64 v[0:1], -v[13:14], v[4:5], v[0:1]
	ds_store_2addr_b64 v17, v[6:7], v[8:9] offset1:1
	ds_store_b128 v12, v[0:3] offset:8736
	global_wb scope:SCOPE_SE
	s_wait_dscnt 0x0
	s_barrier_signal -1
	s_barrier_wait -1
	global_inv scope:SCOPE_SE
	s_and_saveexec_b32 s0, vcc_lo
	s_cbranch_execz .LBB0_23
; %bb.21:
	v_mul_lo_u32 v2, s3, v58
	v_mul_lo_u32 v3, s2, v59
	v_mad_co_u64_u32 v[0:1], null, s2, v58, 0
	v_dual_mov_b32 v55, v57 :: v_dual_add_nc_u32 v56, 0x4e, v54
	v_lshlrev_b64_e32 v[11:12], 4, v[52:53]
	s_delay_alu instid0(VALU_DEP_2) | instskip(NEXT) | instid1(VALU_DEP_4)
	v_lshlrev_b64_e32 v[13:14], 4, v[54:55]
	v_add3_u32 v1, v1, v3, v2
	v_lshl_add_u32 v2, v54, 4, v129
	v_lshlrev_b64_e32 v[19:20], 4, v[56:57]
	ds_load_b128 v[3:6], v2
	ds_load_b128 v[7:10], v2 offset:1248
	v_lshlrev_b64_e32 v[0:1], 4, v[0:1]
	v_add_nc_u32_e32 v56, 0x9c, v54
	s_delay_alu instid0(VALU_DEP_2) | instskip(SKIP_1) | instid1(VALU_DEP_3)
	v_add_co_u32 v0, vcc_lo, s6, v0
	s_wait_alu 0xfffd
	v_add_co_ci_u32_e32 v1, vcc_lo, s7, v1, vcc_lo
	s_delay_alu instid0(VALU_DEP_3) | instskip(NEXT) | instid1(VALU_DEP_3)
	v_lshlrev_b64_e32 v[21:22], 4, v[56:57]
	v_add_co_u32 v0, vcc_lo, v0, v11
	s_wait_alu 0xfffd
	s_delay_alu instid0(VALU_DEP_3) | instskip(SKIP_1) | instid1(VALU_DEP_3)
	v_add_co_ci_u32_e32 v1, vcc_lo, v1, v12, vcc_lo
	v_add_nc_u32_e32 v56, 0xea, v54
	v_add_co_u32 v23, vcc_lo, v0, v13
	s_wait_alu 0xfffd
	s_delay_alu instid0(VALU_DEP_3)
	v_add_co_ci_u32_e32 v24, vcc_lo, v1, v14, vcc_lo
	ds_load_b128 v[11:14], v2 offset:2496
	ds_load_b128 v[15:18], v2 offset:3744
	v_add_co_u32 v19, vcc_lo, v0, v19
	v_lshlrev_b64_e32 v[25:26], 4, v[56:57]
	v_add_nc_u32_e32 v56, 0x138, v54
	s_wait_alu 0xfffd
	v_add_co_ci_u32_e32 v20, vcc_lo, v1, v20, vcc_lo
	v_add_co_u32 v21, vcc_lo, v0, v21
	s_wait_alu 0xfffd
	v_add_co_ci_u32_e32 v22, vcc_lo, v1, v22, vcc_lo
	v_add_co_u32 v25, vcc_lo, v0, v25
	v_lshlrev_b64_e32 v[27:28], 4, v[56:57]
	v_add_nc_u32_e32 v56, 0x186, v54
	s_wait_alu 0xfffd
	v_add_co_ci_u32_e32 v26, vcc_lo, v1, v26, vcc_lo
	s_wait_dscnt 0x3
	global_store_b128 v[23:24], v[3:6], off
	s_wait_dscnt 0x2
	global_store_b128 v[19:20], v[7:10], off
	;; [unrolled: 2-line block ×4, first 2 shown]
	v_lshlrev_b64_e32 v[19:20], 4, v[56:57]
	v_add_nc_u32_e32 v56, 0x1d4, v54
	ds_load_b128 v[3:6], v2 offset:4992
	ds_load_b128 v[7:10], v2 offset:6240
	;; [unrolled: 1-line block ×4, first 2 shown]
	v_add_co_u32 v21, vcc_lo, v0, v27
	v_lshlrev_b64_e32 v[23:24], 4, v[56:57]
	v_add_nc_u32_e32 v56, 0x222, v54
	s_wait_alu 0xfffd
	v_add_co_ci_u32_e32 v22, vcc_lo, v1, v28, vcc_lo
	v_add_co_u32 v19, vcc_lo, v0, v19
	s_delay_alu instid0(VALU_DEP_3)
	v_lshlrev_b64_e32 v[25:26], 4, v[56:57]
	v_add_nc_u32_e32 v56, 0x270, v54
	s_wait_alu 0xfffd
	v_add_co_ci_u32_e32 v20, vcc_lo, v1, v20, vcc_lo
	v_add_co_u32 v23, vcc_lo, v0, v23
	s_wait_alu 0xfffd
	v_add_co_ci_u32_e32 v24, vcc_lo, v1, v24, vcc_lo
	v_lshlrev_b64_e32 v[27:28], 4, v[56:57]
	v_add_nc_u32_e32 v56, 0x2be, v54
	v_add_co_u32 v25, vcc_lo, v0, v25
	s_wait_alu 0xfffd
	v_add_co_ci_u32_e32 v26, vcc_lo, v1, v26, vcc_lo
	s_wait_dscnt 0x3
	global_store_b128 v[21:22], v[3:6], off
	s_wait_dscnt 0x2
	global_store_b128 v[19:20], v[7:10], off
	;; [unrolled: 2-line block ×4, first 2 shown]
	v_lshlrev_b64_e32 v[21:22], 4, v[56:57]
	v_add_nc_u32_e32 v56, 0x30c, v54
	ds_load_b128 v[3:6], v2 offset:9984
	ds_load_b128 v[7:10], v2 offset:11232
	;; [unrolled: 1-line block ×4, first 2 shown]
	v_add_co_u32 v19, vcc_lo, v0, v27
	s_wait_alu 0xfffd
	v_add_co_ci_u32_e32 v20, vcc_lo, v1, v28, vcc_lo
	v_lshlrev_b64_e32 v[23:24], 4, v[56:57]
	v_add_nc_u32_e32 v56, 0x35a, v54
	v_add_co_u32 v21, vcc_lo, v0, v21
	s_wait_alu 0xfffd
	v_add_co_ci_u32_e32 v22, vcc_lo, v1, v22, vcc_lo
	s_delay_alu instid0(VALU_DEP_3) | instskip(SKIP_3) | instid1(VALU_DEP_3)
	v_lshlrev_b64_e32 v[25:26], 4, v[56:57]
	v_add_co_u32 v23, vcc_lo, v0, v23
	s_wait_alu 0xfffd
	v_add_co_ci_u32_e32 v24, vcc_lo, v1, v24, vcc_lo
	v_add_co_u32 v25, vcc_lo, v0, v25
	s_wait_alu 0xfffd
	v_add_co_ci_u32_e32 v26, vcc_lo, v1, v26, vcc_lo
	v_cmp_eq_u32_e32 vcc_lo, 0x4d, v54
	s_wait_dscnt 0x3
	global_store_b128 v[19:20], v[3:6], off
	s_wait_dscnt 0x2
	global_store_b128 v[21:22], v[7:10], off
	;; [unrolled: 2-line block ×4, first 2 shown]
	s_and_b32 exec_lo, exec_lo, vcc_lo
	s_cbranch_execz .LBB0_23
; %bb.22:
	ds_load_b128 v[2:5], v2 offset:13744
	s_wait_dscnt 0x0
	global_store_b128 v[0:1], v[2:5], off offset:14976
.LBB0_23:
	s_nop 0
	s_sendmsg sendmsg(MSG_DEALLOC_VGPRS)
	s_endpgm
	.section	.rodata,"a",@progbits
	.p2align	6, 0x0
	.amdhsa_kernel fft_rtc_back_len936_factors_2_2_13_2_3_3_wgs_234_tpt_78_halfLds_dp_op_CI_CI_unitstride_sbrr_R2C_dirReg
		.amdhsa_group_segment_fixed_size 0
		.amdhsa_private_segment_fixed_size 0
		.amdhsa_kernarg_size 104
		.amdhsa_user_sgpr_count 2
		.amdhsa_user_sgpr_dispatch_ptr 0
		.amdhsa_user_sgpr_queue_ptr 0
		.amdhsa_user_sgpr_kernarg_segment_ptr 1
		.amdhsa_user_sgpr_dispatch_id 0
		.amdhsa_user_sgpr_private_segment_size 0
		.amdhsa_wavefront_size32 1
		.amdhsa_uses_dynamic_stack 0
		.amdhsa_enable_private_segment 0
		.amdhsa_system_sgpr_workgroup_id_x 1
		.amdhsa_system_sgpr_workgroup_id_y 0
		.amdhsa_system_sgpr_workgroup_id_z 0
		.amdhsa_system_sgpr_workgroup_info 0
		.amdhsa_system_vgpr_workitem_id 0
		.amdhsa_next_free_vgpr 224
		.amdhsa_next_free_sgpr 39
		.amdhsa_reserve_vcc 1
		.amdhsa_float_round_mode_32 0
		.amdhsa_float_round_mode_16_64 0
		.amdhsa_float_denorm_mode_32 3
		.amdhsa_float_denorm_mode_16_64 3
		.amdhsa_fp16_overflow 0
		.amdhsa_workgroup_processor_mode 1
		.amdhsa_memory_ordered 1
		.amdhsa_forward_progress 0
		.amdhsa_round_robin_scheduling 0
		.amdhsa_exception_fp_ieee_invalid_op 0
		.amdhsa_exception_fp_denorm_src 0
		.amdhsa_exception_fp_ieee_div_zero 0
		.amdhsa_exception_fp_ieee_overflow 0
		.amdhsa_exception_fp_ieee_underflow 0
		.amdhsa_exception_fp_ieee_inexact 0
		.amdhsa_exception_int_div_zero 0
	.end_amdhsa_kernel
	.text
.Lfunc_end0:
	.size	fft_rtc_back_len936_factors_2_2_13_2_3_3_wgs_234_tpt_78_halfLds_dp_op_CI_CI_unitstride_sbrr_R2C_dirReg, .Lfunc_end0-fft_rtc_back_len936_factors_2_2_13_2_3_3_wgs_234_tpt_78_halfLds_dp_op_CI_CI_unitstride_sbrr_R2C_dirReg
                                        ; -- End function
	.section	.AMDGPU.csdata,"",@progbits
; Kernel info:
; codeLenInByte = 12672
; NumSgprs: 41
; NumVgprs: 224
; ScratchSize: 0
; MemoryBound: 0
; FloatMode: 240
; IeeeMode: 1
; LDSByteSize: 0 bytes/workgroup (compile time only)
; SGPRBlocks: 5
; VGPRBlocks: 27
; NumSGPRsForWavesPerEU: 41
; NumVGPRsForWavesPerEU: 224
; Occupancy: 6
; WaveLimiterHint : 1
; COMPUTE_PGM_RSRC2:SCRATCH_EN: 0
; COMPUTE_PGM_RSRC2:USER_SGPR: 2
; COMPUTE_PGM_RSRC2:TRAP_HANDLER: 0
; COMPUTE_PGM_RSRC2:TGID_X_EN: 1
; COMPUTE_PGM_RSRC2:TGID_Y_EN: 0
; COMPUTE_PGM_RSRC2:TGID_Z_EN: 0
; COMPUTE_PGM_RSRC2:TIDIG_COMP_CNT: 0
	.text
	.p2alignl 7, 3214868480
	.fill 96, 4, 3214868480
	.type	__hip_cuid_617ccd18631b7de5,@object ; @__hip_cuid_617ccd18631b7de5
	.section	.bss,"aw",@nobits
	.globl	__hip_cuid_617ccd18631b7de5
__hip_cuid_617ccd18631b7de5:
	.byte	0                               ; 0x0
	.size	__hip_cuid_617ccd18631b7de5, 1

	.ident	"AMD clang version 19.0.0git (https://github.com/RadeonOpenCompute/llvm-project roc-6.4.0 25133 c7fe45cf4b819c5991fe208aaa96edf142730f1d)"
	.section	".note.GNU-stack","",@progbits
	.addrsig
	.addrsig_sym __hip_cuid_617ccd18631b7de5
	.amdgpu_metadata
---
amdhsa.kernels:
  - .args:
      - .actual_access:  read_only
        .address_space:  global
        .offset:         0
        .size:           8
        .value_kind:     global_buffer
      - .offset:         8
        .size:           8
        .value_kind:     by_value
      - .actual_access:  read_only
        .address_space:  global
        .offset:         16
        .size:           8
        .value_kind:     global_buffer
      - .actual_access:  read_only
        .address_space:  global
        .offset:         24
        .size:           8
        .value_kind:     global_buffer
      - .actual_access:  read_only
        .address_space:  global
        .offset:         32
        .size:           8
        .value_kind:     global_buffer
      - .offset:         40
        .size:           8
        .value_kind:     by_value
      - .actual_access:  read_only
        .address_space:  global
        .offset:         48
        .size:           8
        .value_kind:     global_buffer
      - .actual_access:  read_only
        .address_space:  global
        .offset:         56
        .size:           8
        .value_kind:     global_buffer
      - .offset:         64
        .size:           4
        .value_kind:     by_value
      - .actual_access:  read_only
        .address_space:  global
        .offset:         72
        .size:           8
        .value_kind:     global_buffer
      - .actual_access:  read_only
        .address_space:  global
        .offset:         80
        .size:           8
        .value_kind:     global_buffer
      - .actual_access:  read_only
        .address_space:  global
        .offset:         88
        .size:           8
        .value_kind:     global_buffer
      - .actual_access:  write_only
        .address_space:  global
        .offset:         96
        .size:           8
        .value_kind:     global_buffer
    .group_segment_fixed_size: 0
    .kernarg_segment_align: 8
    .kernarg_segment_size: 104
    .language:       OpenCL C
    .language_version:
      - 2
      - 0
    .max_flat_workgroup_size: 234
    .name:           fft_rtc_back_len936_factors_2_2_13_2_3_3_wgs_234_tpt_78_halfLds_dp_op_CI_CI_unitstride_sbrr_R2C_dirReg
    .private_segment_fixed_size: 0
    .sgpr_count:     41
    .sgpr_spill_count: 0
    .symbol:         fft_rtc_back_len936_factors_2_2_13_2_3_3_wgs_234_tpt_78_halfLds_dp_op_CI_CI_unitstride_sbrr_R2C_dirReg.kd
    .uniform_work_group_size: 1
    .uses_dynamic_stack: false
    .vgpr_count:     224
    .vgpr_spill_count: 0
    .wavefront_size: 32
    .workgroup_processor_mode: 1
amdhsa.target:   amdgcn-amd-amdhsa--gfx1201
amdhsa.version:
  - 1
  - 2
...

	.end_amdgpu_metadata
